;; amdgpu-corpus repo=ROCm/rocFFT kind=compiled arch=gfx906 opt=O3
	.text
	.amdgcn_target "amdgcn-amd-amdhsa--gfx906"
	.amdhsa_code_object_version 6
	.protected	fft_rtc_back_len1020_factors_2_17_2_3_5_wgs_204_tpt_68_halfLds_half_op_CI_CI_sbrr_dirReg ; -- Begin function fft_rtc_back_len1020_factors_2_17_2_3_5_wgs_204_tpt_68_halfLds_half_op_CI_CI_sbrr_dirReg
	.globl	fft_rtc_back_len1020_factors_2_17_2_3_5_wgs_204_tpt_68_halfLds_half_op_CI_CI_sbrr_dirReg
	.p2align	8
	.type	fft_rtc_back_len1020_factors_2_17_2_3_5_wgs_204_tpt_68_halfLds_half_op_CI_CI_sbrr_dirReg,@function
fft_rtc_back_len1020_factors_2_17_2_3_5_wgs_204_tpt_68_halfLds_half_op_CI_CI_sbrr_dirReg: ; @fft_rtc_back_len1020_factors_2_17_2_3_5_wgs_204_tpt_68_halfLds_half_op_CI_CI_sbrr_dirReg
; %bb.0:
	s_load_dwordx4 s[16:19], s[4:5], 0x18
	s_load_dwordx4 s[12:15], s[4:5], 0x0
	;; [unrolled: 1-line block ×3, first 2 shown]
	v_mul_u32_u24_e32 v1, 0x3c4, v0
	v_lshrrev_b32_e32 v1, 16, v1
	v_mad_u64_u32 v[5:6], s[0:1], s6, 3, v[1:2]
	s_waitcnt lgkmcnt(0)
	s_load_dwordx2 s[2:3], s[16:17], 0x0
	s_load_dwordx2 s[20:21], s[18:19], 0x0
	v_mov_b32_e32 v9, 0
	v_cmp_lt_u64_e64 s[0:1], s[14:15], 2
	v_mov_b32_e32 v7, 0
	v_mov_b32_e32 v6, v9
	;; [unrolled: 1-line block ×5, first 2 shown]
	s_and_b64 vcc, exec, s[0:1]
	v_mov_b32_e32 v2, v8
	v_mov_b32_e32 v4, v6
	s_cbranch_vccnz .LBB0_8
; %bb.1:
	s_load_dwordx2 s[0:1], s[4:5], 0x10
	s_add_u32 s6, s18, 8
	s_addc_u32 s7, s19, 0
	s_add_u32 s22, s16, 8
	s_addc_u32 s23, s17, 0
	v_mov_b32_e32 v7, 0
	s_waitcnt lgkmcnt(0)
	s_add_u32 s24, s0, 8
	v_mov_b32_e32 v8, 0
	v_mov_b32_e32 v1, v7
	;; [unrolled: 1-line block ×3, first 2 shown]
	s_addc_u32 s25, s1, 0
	s_mov_b64 s[26:27], 1
	v_mov_b32_e32 v2, v8
	v_mov_b32_e32 v11, v5
.LBB0_2:                                ; =>This Inner Loop Header: Depth=1
	s_load_dwordx2 s[28:29], s[24:25], 0x0
                                        ; implicit-def: $vgpr3_vgpr4
	s_waitcnt lgkmcnt(0)
	v_or_b32_e32 v10, s29, v12
	v_cmp_ne_u64_e32 vcc, 0, v[9:10]
	s_and_saveexec_b64 s[0:1], vcc
	s_xor_b64 s[30:31], exec, s[0:1]
	s_cbranch_execz .LBB0_4
; %bb.3:                                ;   in Loop: Header=BB0_2 Depth=1
	v_cvt_f32_u32_e32 v3, s28
	v_cvt_f32_u32_e32 v4, s29
	s_sub_u32 s0, 0, s28
	s_subb_u32 s1, 0, s29
	v_mac_f32_e32 v3, 0x4f800000, v4
	v_rcp_f32_e32 v3, v3
	v_mul_f32_e32 v3, 0x5f7ffffc, v3
	v_mul_f32_e32 v4, 0x2f800000, v3
	v_trunc_f32_e32 v4, v4
	v_mac_f32_e32 v3, 0xcf800000, v4
	v_cvt_u32_f32_e32 v4, v4
	v_cvt_u32_f32_e32 v3, v3
	v_mul_lo_u32 v6, s0, v4
	v_mul_hi_u32 v10, s0, v3
	v_mul_lo_u32 v14, s1, v3
	v_mul_lo_u32 v13, s0, v3
	v_add_u32_e32 v6, v10, v6
	v_add_u32_e32 v6, v6, v14
	v_mul_hi_u32 v10, v3, v13
	v_mul_lo_u32 v14, v3, v6
	v_mul_hi_u32 v16, v3, v6
	v_mul_hi_u32 v15, v4, v13
	v_mul_lo_u32 v13, v4, v13
	v_mul_hi_u32 v17, v4, v6
	v_add_co_u32_e32 v10, vcc, v10, v14
	v_addc_co_u32_e32 v14, vcc, 0, v16, vcc
	v_mul_lo_u32 v6, v4, v6
	v_add_co_u32_e32 v10, vcc, v10, v13
	v_addc_co_u32_e32 v10, vcc, v14, v15, vcc
	v_addc_co_u32_e32 v13, vcc, 0, v17, vcc
	v_add_co_u32_e32 v6, vcc, v10, v6
	v_addc_co_u32_e32 v10, vcc, 0, v13, vcc
	v_add_co_u32_e32 v3, vcc, v3, v6
	v_addc_co_u32_e32 v4, vcc, v4, v10, vcc
	v_mul_lo_u32 v6, s0, v4
	v_mul_hi_u32 v10, s0, v3
	v_mul_lo_u32 v13, s1, v3
	v_mul_lo_u32 v14, s0, v3
	v_add_u32_e32 v6, v10, v6
	v_add_u32_e32 v6, v6, v13
	v_mul_lo_u32 v15, v3, v6
	v_mul_hi_u32 v16, v3, v14
	v_mul_hi_u32 v17, v3, v6
	;; [unrolled: 1-line block ×3, first 2 shown]
	v_mul_lo_u32 v14, v4, v14
	v_mul_hi_u32 v10, v4, v6
	v_add_co_u32_e32 v15, vcc, v16, v15
	v_addc_co_u32_e32 v16, vcc, 0, v17, vcc
	v_mul_lo_u32 v6, v4, v6
	v_add_co_u32_e32 v14, vcc, v15, v14
	v_addc_co_u32_e32 v13, vcc, v16, v13, vcc
	v_addc_co_u32_e32 v10, vcc, 0, v10, vcc
	v_add_co_u32_e32 v6, vcc, v13, v6
	v_addc_co_u32_e32 v10, vcc, 0, v10, vcc
	v_add_co_u32_e32 v6, vcc, v3, v6
	v_addc_co_u32_e32 v10, vcc, v4, v10, vcc
	v_mad_u64_u32 v[3:4], s[0:1], v11, v10, 0
	v_mul_hi_u32 v13, v11, v6
	v_add_co_u32_e32 v15, vcc, v13, v3
	v_addc_co_u32_e32 v16, vcc, 0, v4, vcc
	v_mad_u64_u32 v[3:4], s[0:1], v12, v6, 0
	v_mad_u64_u32 v[13:14], s[0:1], v12, v10, 0
	v_add_co_u32_e32 v3, vcc, v15, v3
	v_addc_co_u32_e32 v3, vcc, v16, v4, vcc
	v_addc_co_u32_e32 v4, vcc, 0, v14, vcc
	v_add_co_u32_e32 v6, vcc, v3, v13
	v_addc_co_u32_e32 v10, vcc, 0, v4, vcc
	v_mul_lo_u32 v13, s29, v6
	v_mul_lo_u32 v14, s28, v10
	v_mad_u64_u32 v[3:4], s[0:1], s28, v6, 0
	v_add3_u32 v4, v4, v14, v13
	v_sub_u32_e32 v13, v12, v4
	v_mov_b32_e32 v14, s29
	v_sub_co_u32_e32 v3, vcc, v11, v3
	v_subb_co_u32_e64 v13, s[0:1], v13, v14, vcc
	v_subrev_co_u32_e64 v14, s[0:1], s28, v3
	v_subbrev_co_u32_e64 v13, s[0:1], 0, v13, s[0:1]
	v_cmp_le_u32_e64 s[0:1], s29, v13
	v_cndmask_b32_e64 v15, 0, -1, s[0:1]
	v_cmp_le_u32_e64 s[0:1], s28, v14
	v_cndmask_b32_e64 v14, 0, -1, s[0:1]
	v_cmp_eq_u32_e64 s[0:1], s29, v13
	v_cndmask_b32_e64 v13, v15, v14, s[0:1]
	v_add_co_u32_e64 v14, s[0:1], 2, v6
	v_addc_co_u32_e64 v15, s[0:1], 0, v10, s[0:1]
	v_add_co_u32_e64 v16, s[0:1], 1, v6
	v_addc_co_u32_e64 v17, s[0:1], 0, v10, s[0:1]
	v_subb_co_u32_e32 v4, vcc, v12, v4, vcc
	v_cmp_ne_u32_e64 s[0:1], 0, v13
	v_cmp_le_u32_e32 vcc, s29, v4
	v_cndmask_b32_e64 v13, v17, v15, s[0:1]
	v_cndmask_b32_e64 v15, 0, -1, vcc
	v_cmp_le_u32_e32 vcc, s28, v3
	v_cndmask_b32_e64 v3, 0, -1, vcc
	v_cmp_eq_u32_e32 vcc, s29, v4
	v_cndmask_b32_e32 v3, v15, v3, vcc
	v_cmp_ne_u32_e32 vcc, 0, v3
	v_cndmask_b32_e64 v3, v16, v14, s[0:1]
	v_cndmask_b32_e32 v4, v10, v13, vcc
	v_cndmask_b32_e32 v3, v6, v3, vcc
.LBB0_4:                                ;   in Loop: Header=BB0_2 Depth=1
	s_andn2_saveexec_b64 s[0:1], s[30:31]
	s_cbranch_execz .LBB0_6
; %bb.5:                                ;   in Loop: Header=BB0_2 Depth=1
	v_cvt_f32_u32_e32 v3, s28
	s_sub_i32 s30, 0, s28
	v_rcp_iflag_f32_e32 v3, v3
	v_mul_f32_e32 v3, 0x4f7ffffe, v3
	v_cvt_u32_f32_e32 v3, v3
	v_mul_lo_u32 v4, s30, v3
	v_mul_hi_u32 v4, v3, v4
	v_add_u32_e32 v3, v3, v4
	v_mul_hi_u32 v3, v11, v3
	v_mul_lo_u32 v4, v3, s28
	v_add_u32_e32 v6, 1, v3
	v_sub_u32_e32 v4, v11, v4
	v_subrev_u32_e32 v10, s28, v4
	v_cmp_le_u32_e32 vcc, s28, v4
	v_cndmask_b32_e32 v4, v4, v10, vcc
	v_cndmask_b32_e32 v3, v3, v6, vcc
	v_add_u32_e32 v6, 1, v3
	v_cmp_le_u32_e32 vcc, s28, v4
	v_cndmask_b32_e32 v3, v3, v6, vcc
	v_mov_b32_e32 v4, v9
.LBB0_6:                                ;   in Loop: Header=BB0_2 Depth=1
	s_or_b64 exec, exec, s[0:1]
	v_mul_lo_u32 v6, v4, s28
	v_mul_lo_u32 v10, v3, s29
	v_mad_u64_u32 v[13:14], s[0:1], v3, s28, 0
	s_load_dwordx2 s[0:1], s[22:23], 0x0
	s_load_dwordx2 s[28:29], s[6:7], 0x0
	v_add3_u32 v6, v14, v10, v6
	v_sub_co_u32_e32 v10, vcc, v11, v13
	v_subb_co_u32_e32 v6, vcc, v12, v6, vcc
	s_waitcnt lgkmcnt(0)
	v_mul_lo_u32 v11, s0, v6
	v_mul_lo_u32 v12, s1, v10
	v_mad_u64_u32 v[7:8], s[0:1], s0, v10, v[7:8]
	s_add_u32 s26, s26, 1
	s_addc_u32 s27, s27, 0
	s_add_u32 s6, s6, 8
	v_mul_lo_u32 v6, s28, v6
	v_mul_lo_u32 v13, s29, v10
	v_mad_u64_u32 v[1:2], s[0:1], s28, v10, v[1:2]
	v_add3_u32 v8, v12, v8, v11
	s_addc_u32 s7, s7, 0
	v_mov_b32_e32 v10, s14
	s_add_u32 s22, s22, 8
	v_mov_b32_e32 v11, s15
	s_addc_u32 s23, s23, 0
	v_cmp_ge_u64_e32 vcc, s[26:27], v[10:11]
	s_add_u32 s24, s24, 8
	v_add3_u32 v2, v13, v2, v6
	s_addc_u32 s25, s25, 0
	s_cbranch_vccnz .LBB0_8
; %bb.7:                                ;   in Loop: Header=BB0_2 Depth=1
	v_mov_b32_e32 v12, v4
	v_mov_b32_e32 v11, v3
	s_branch .LBB0_2
.LBB0_8:
	s_load_dwordx2 s[0:1], s[4:5], 0x28
	s_lshl_b64 s[14:15], s[14:15], 3
	s_add_u32 s4, s18, s14
	s_addc_u32 s5, s19, s15
                                        ; implicit-def: $sgpr18
                                        ; implicit-def: $vgpr11
                                        ; implicit-def: $vgpr14
                                        ; implicit-def: $vgpr10
                                        ; implicit-def: $vgpr12
                                        ; implicit-def: $vgpr13
                                        ; implicit-def: $vgpr15
                                        ; implicit-def: $vgpr16
	s_waitcnt lgkmcnt(0)
	v_cmp_gt_u64_e32 vcc, s[0:1], v[3:4]
	v_cmp_le_u64_e64 s[0:1], s[0:1], v[3:4]
	s_and_saveexec_b64 s[6:7], s[0:1]
	s_xor_b64 s[0:1], exec, s[6:7]
; %bb.9:
	s_mov_b32 s6, 0x3c3c3c4
	v_mul_hi_u32 v6, v0, s6
	s_mov_b32 s18, 0
                                        ; implicit-def: $vgpr7_vgpr8
	v_mul_u32_u24_e32 v6, 0x44, v6
	v_sub_u32_e32 v11, v0, v6
	v_add_u32_e32 v14, 0x44, v11
	v_add_u32_e32 v10, 0x88, v11
	;; [unrolled: 1-line block ×6, first 2 shown]
                                        ; implicit-def: $vgpr0
; %bb.10:
	s_or_saveexec_b64 s[6:7], s[0:1]
	s_load_dwordx2 s[4:5], s[4:5], 0x0
	v_mov_b32_e32 v27, s18
	v_mov_b32_e32 v50, s18
                                        ; implicit-def: $vgpr25
                                        ; implicit-def: $vgpr6
                                        ; implicit-def: $vgpr36
                                        ; implicit-def: $vgpr17
                                        ; implicit-def: $vgpr37
                                        ; implicit-def: $vgpr9
                                        ; implicit-def: $vgpr39
                                        ; implicit-def: $vgpr19
                                        ; implicit-def: $vgpr40
                                        ; implicit-def: $vgpr21
                                        ; implicit-def: $vgpr41
                                        ; implicit-def: $vgpr20
                                        ; implicit-def: $vgpr42
                                        ; implicit-def: $vgpr22
                                        ; implicit-def: $vgpr43
                                        ; implicit-def: $vgpr23
                                        ; implicit-def: $vgpr44
                                        ; implicit-def: $vgpr24
                                        ; implicit-def: $vgpr45
                                        ; implicit-def: $vgpr26
                                        ; implicit-def: $vgpr46
                                        ; implicit-def: $vgpr32
                                        ; implicit-def: $vgpr47
                                        ; implicit-def: $vgpr33
                                        ; implicit-def: $vgpr48
                                        ; implicit-def: $vgpr34
                                        ; implicit-def: $vgpr49
                                        ; implicit-def: $vgpr35
                                        ; implicit-def: $vgpr38
                                        ; implicit-def: $vgpr51
	s_xor_b64 exec, exec, s[6:7]
	s_cbranch_execz .LBB0_14
; %bb.11:
	s_add_u32 s0, s16, s14
	s_mov_b32 s14, 0x3c3c3c4
	v_mul_hi_u32 v6, v0, s14
	s_addc_u32 s1, s17, s15
	s_load_dwordx2 s[0:1], s[0:1], 0x0
	v_mov_b32_e32 v50, 0
	v_mul_u32_u24_e32 v6, 0x44, v6
	v_sub_u32_e32 v11, v0, v6
	v_mad_u64_u32 v[9:10], s[14:15], s2, v11, 0
	s_waitcnt lgkmcnt(0)
	v_mul_lo_u32 v6, s1, v3
	v_mul_lo_u32 v16, s0, v4
	v_mad_u64_u32 v[12:13], s[0:1], s0, v3, 0
	v_mov_b32_e32 v0, v10
	v_mad_u64_u32 v[14:15], s[0:1], s3, v11, v[0:1]
	v_add3_u32 v13, v13, v16, v6
	v_lshlrev_b64 v[12:13], 2, v[12:13]
	v_mov_b32_e32 v10, v14
	v_mov_b32_e32 v0, s9
	v_add_co_u32_e64 v14, s[0:1], s8, v12
	v_add_u32_e32 v16, 0x1fe, v11
	v_addc_co_u32_e64 v15, s[0:1], v0, v13, s[0:1]
	v_mad_u64_u32 v[12:13], s[0:1], s2, v16, 0
	v_lshlrev_b64 v[6:7], 2, v[7:8]
	v_lshlrev_b64 v[8:9], 2, v[9:10]
	v_add_co_u32_e64 v0, s[0:1], v14, v6
	v_addc_co_u32_e64 v7, s[0:1], v15, v7, s[0:1]
	v_mov_b32_e32 v6, v13
	v_mad_u64_u32 v[13:14], s[0:1], s3, v16, v[6:7]
	v_add_u32_e32 v14, 0x44, v11
	v_mad_u64_u32 v[15:16], s[0:1], s2, v14, 0
	v_add_co_u32_e64 v24, s[0:1], v0, v8
	v_add_u32_e32 v10, 0x242, v11
	v_addc_co_u32_e64 v25, s[0:1], v7, v9, s[0:1]
	v_mov_b32_e32 v6, v16
	v_mad_u64_u32 v[17:18], s[0:1], s2, v10, 0
	v_lshlrev_b64 v[8:9], 2, v[12:13]
	v_mad_u64_u32 v[12:13], s[0:1], s3, v14, v[6:7]
	v_add_co_u32_e64 v26, s[0:1], v0, v8
	v_mov_b32_e32 v6, v18
	v_addc_co_u32_e64 v27, s[0:1], v7, v9, s[0:1]
	v_mov_b32_e32 v16, v12
	v_mad_u64_u32 v[12:13], s[0:1], s3, v10, v[6:7]
	v_add_u32_e32 v10, 0x88, v11
	v_lshlrev_b64 v[8:9], 2, v[15:16]
	v_mad_u64_u32 v[15:16], s[0:1], s2, v10, 0
	v_add_co_u32_e64 v28, s[0:1], v0, v8
	v_mov_b32_e32 v6, v16
	v_addc_co_u32_e64 v29, s[0:1], v7, v9, s[0:1]
	v_mov_b32_e32 v18, v12
	v_mad_u64_u32 v[12:13], s[0:1], s3, v10, v[6:7]
	v_add_u32_e32 v13, 0x286, v11
	v_lshlrev_b64 v[8:9], 2, v[17:18]
	v_mad_u64_u32 v[17:18], s[0:1], s2, v13, 0
	v_add_co_u32_e64 v30, s[0:1], v0, v8
	v_mov_b32_e32 v16, v12
	v_add_u32_e32 v12, 0xcc, v11
	v_addc_co_u32_e64 v31, s[0:1], v7, v9, s[0:1]
	v_mov_b32_e32 v6, v18
	v_mad_u64_u32 v[19:20], s[0:1], s2, v12, 0
	v_lshlrev_b64 v[8:9], 2, v[15:16]
	v_mad_u64_u32 v[15:16], s[0:1], s3, v13, v[6:7]
	v_add_co_u32_e64 v32, s[0:1], v0, v8
	v_mov_b32_e32 v6, v20
	v_addc_co_u32_e64 v33, s[0:1], v7, v9, s[0:1]
	v_mov_b32_e32 v18, v15
	v_mad_u64_u32 v[15:16], s[0:1], s3, v12, v[6:7]
	v_add_u32_e32 v13, 0x2ca, v11
	v_lshlrev_b64 v[8:9], 2, v[17:18]
	v_mad_u64_u32 v[16:17], s[0:1], s2, v13, 0
	v_add_co_u32_e64 v34, s[0:1], v0, v8
	v_mov_b32_e32 v6, v17
	v_addc_co_u32_e64 v35, s[0:1], v7, v9, s[0:1]
	v_mov_b32_e32 v20, v15
	v_mad_u64_u32 v[17:18], s[0:1], s3, v13, v[6:7]
	v_lshlrev_b64 v[8:9], 2, v[19:20]
	v_add_u32_e32 v13, 0x110, v11
	v_add_co_u32_e64 v36, s[0:1], v0, v8
	v_addc_co_u32_e64 v37, s[0:1], v7, v9, s[0:1]
	v_lshlrev_b64 v[8:9], 2, v[16:17]
	v_mad_u64_u32 v[15:16], s[0:1], s2, v13, 0
	v_add_co_u32_e64 v38, s[0:1], v0, v8
	v_mov_b32_e32 v6, v16
	v_addc_co_u32_e64 v39, s[0:1], v7, v9, s[0:1]
	v_mad_u64_u32 v[8:9], s[0:1], s3, v13, v[6:7]
	global_load_dword v6, v[24:25], off
	global_load_dword v17, v[26:27], off
	;; [unrolled: 1-line block ×8, first 2 shown]
	v_add_u32_e32 v18, 0x30e, v11
	v_mad_u64_u32 v[40:41], s[0:1], s2, v18, 0
	v_mov_b32_e32 v16, v8
	v_lshlrev_b64 v[24:25], 2, v[15:16]
	v_mov_b32_e32 v8, v41
	v_add_u32_e32 v15, 0x154, v11
	v_add_u32_e32 v16, 0x352, v11
                                        ; implicit-def: $vgpr51
	s_waitcnt vmcnt(5)
	v_mad_u64_u32 v[26:27], s[0:1], s3, v18, v[8:9]
	v_mad_u64_u32 v[27:28], s[0:1], s2, v15, 0
	v_add_co_u32_e64 v29, s[0:1], v0, v24
	v_mov_b32_e32 v8, v28
	v_addc_co_u32_e64 v30, s[0:1], v7, v25, s[0:1]
	v_mad_u64_u32 v[31:32], s[0:1], s3, v15, v[8:9]
	v_mad_u64_u32 v[32:33], s[0:1], s2, v16, 0
	v_mov_b32_e32 v41, v26
	v_lshlrev_b64 v[24:25], 2, v[40:41]
	v_mov_b32_e32 v28, v31
	v_add_co_u32_e64 v36, s[0:1], v0, v24
	v_mov_b32_e32 v8, v33
	v_addc_co_u32_e64 v37, s[0:1], v7, v25, s[0:1]
	v_lshlrev_b64 v[24:25], 2, v[27:28]
	v_mad_u64_u32 v[26:27], s[0:1], s3, v16, v[8:9]
	v_add_u32_e32 v16, 0x198, v11
	v_mad_u64_u32 v[27:28], s[0:1], s2, v16, 0
	v_add_co_u32_e64 v38, s[0:1], v0, v24
	v_mov_b32_e32 v33, v26
	v_mov_b32_e32 v8, v28
	v_addc_co_u32_e64 v39, s[0:1], v7, v25, s[0:1]
	v_lshlrev_b64 v[24:25], 2, v[32:33]
	v_mad_u64_u32 v[31:32], s[0:1], s3, v16, v[8:9]
	v_add_u32_e32 v18, 0x396, v11
	v_mad_u64_u32 v[32:33], s[0:1], s2, v18, 0
	v_add_co_u32_e64 v40, s[0:1], v0, v24
	v_mov_b32_e32 v28, v31
	v_mov_b32_e32 v8, v33
	v_addc_co_u32_e64 v41, s[0:1], v7, v25, s[0:1]
	v_lshlrev_b64 v[24:25], 2, v[27:28]
	v_mad_u64_u32 v[26:27], s[0:1], s3, v18, v[8:9]
	v_add_co_u32_e64 v27, s[0:1], v0, v24
	v_mov_b32_e32 v33, v26
	v_addc_co_u32_e64 v28, s[0:1], v7, v25, s[0:1]
	v_lshlrev_b64 v[24:25], 2, v[32:33]
	v_add_co_u32_e64 v42, s[0:1], v0, v24
	v_addc_co_u32_e64 v43, s[0:1], v7, v25, s[0:1]
	global_load_dword v24, v[29:30], off
	global_load_dword v26, v[36:37], off
	global_load_dword v32, v[38:39], off
	global_load_dword v33, v[40:41], off
	global_load_dword v34, v[27:28], off
	global_load_dword v35, v[42:43], off
	v_cmp_gt_u32_e64 s[0:1], 34, v11
	v_mov_b32_e32 v27, 0
                                        ; implicit-def: $vgpr38
	s_and_saveexec_b64 s[8:9], s[0:1]
	s_cbranch_execz .LBB0_13
; %bb.12:
	v_add_u32_e32 v18, 0x1dc, v11
	v_mad_u64_u32 v[27:28], s[0:1], s2, v18, 0
	v_add_u32_e32 v25, 0x3da, v11
	v_mad_u64_u32 v[29:30], s[0:1], s2, v25, 0
	v_mov_b32_e32 v8, v28
	v_mad_u64_u32 v[36:37], s[0:1], s3, v18, v[8:9]
	v_mov_b32_e32 v8, v30
	;; [unrolled: 2-line block ×3, first 2 shown]
	v_lshlrev_b64 v[27:28], 2, v[27:28]
	v_lshlrev_b64 v[29:30], 2, v[29:30]
	v_add_co_u32_e64 v27, s[0:1], v0, v27
	v_addc_co_u32_e64 v28, s[0:1], v7, v28, s[0:1]
	v_add_co_u32_e64 v29, s[0:1], v0, v29
	v_addc_co_u32_e64 v30, s[0:1], v7, v30, s[0:1]
	global_load_dword v50, v[27:28], off
	global_load_dword v51, v[29:30], off
	s_waitcnt vmcnt(1)
	v_lshrrev_b32_e32 v27, 16, v50
	s_waitcnt vmcnt(0)
	v_lshrrev_b32_e32 v38, 16, v51
.LBB0_13:
	s_or_b64 exec, exec, s[8:9]
	v_lshrrev_b32_e32 v25, 16, v6
	v_lshrrev_b32_e32 v36, 16, v17
	;; [unrolled: 1-line block ×3, first 2 shown]
	s_waitcnt vmcnt(10)
	v_lshrrev_b32_e32 v39, 16, v19
	s_waitcnt vmcnt(9)
	v_lshrrev_b32_e32 v40, 16, v21
	s_waitcnt vmcnt(8)
	v_lshrrev_b32_e32 v41, 16, v20
	s_waitcnt vmcnt(7)
	v_lshrrev_b32_e32 v42, 16, v22
	s_waitcnt vmcnt(6)
	v_lshrrev_b32_e32 v43, 16, v23
	s_waitcnt vmcnt(5)
	v_lshrrev_b32_e32 v44, 16, v24
	s_waitcnt vmcnt(4)
	v_lshrrev_b32_e32 v45, 16, v26
	s_waitcnt vmcnt(3)
	v_lshrrev_b32_e32 v46, 16, v32
	s_waitcnt vmcnt(2)
	v_lshrrev_b32_e32 v47, 16, v33
	s_waitcnt vmcnt(1)
	v_lshrrev_b32_e32 v48, 16, v34
	s_waitcnt vmcnt(0)
	v_lshrrev_b32_e32 v49, 16, v35
.LBB0_14:
	s_or_b64 exec, exec, s[6:7]
	s_mov_b32 s0, 0xaaaaaaab
	v_mul_hi_u32 v0, v5, s0
	v_sub_f16_e32 v18, v6, v17
	v_sub_f16_e32 v19, v9, v19
	v_fma_f16 v17, v6, 2.0, -v18
	v_lshrrev_b32_e32 v0, 1, v0
	v_lshl_add_u32 v0, v0, 1, v0
	v_sub_u32_e32 v0, v5, v0
	v_mul_u32_u24_e32 v0, 0x3fc, v0
	v_lshlrev_b32_e32 v5, 2, v11
	v_lshlrev_b32_e32 v0, 1, v0
	v_fma_f16 v28, v9, 2.0, -v19
	v_sub_f16_e32 v20, v21, v20
	v_add3_u32 v58, 0, v5, v0
	v_pack_b32_f16 v6, v17, v18
	v_lshlrev_b32_e32 v8, 2, v14
	v_fma_f16 v29, v21, 2.0, -v20
	ds_write_b32 v58, v6
	v_add3_u32 v59, 0, v8, v0
	v_pack_b32_f16 v6, v28, v19
	v_lshlrev_b32_e32 v9, 2, v10
	v_sub_f16_e32 v21, v22, v23
	ds_write_b32 v59, v6
	v_add3_u32 v60, 0, v9, v0
	v_pack_b32_f16 v6, v29, v20
	v_fma_f16 v30, v22, 2.0, -v21
	ds_write_b32 v60, v6
	v_lshlrev_b32_e32 v6, 2, v12
	v_sub_f16_e32 v22, v24, v26
	v_add3_u32 v61, 0, v6, v0
	v_pack_b32_f16 v6, v30, v21
	v_fma_f16 v31, v24, 2.0, -v22
	ds_write_b32 v61, v6
	v_lshlrev_b32_e32 v6, 2, v13
	v_sub_f16_e32 v23, v32, v33
	;; [unrolled: 6-line block ×3, first 2 shown]
	v_add3_u32 v63, 0, v6, v0
	v_pack_b32_f16 v6, v32, v23
	v_fma_f16 v33, v34, 2.0, -v24
	v_sub_f16_e32 v26, v50, v51
	ds_write_b32 v63, v6
	v_lshlrev_b32_e32 v6, 2, v16
	v_add_u32_e32 v7, 0x1dc, v11
	v_fma_f16 v34, v50, 2.0, -v26
	v_add3_u32 v65, 0, v6, v0
	v_pack_b32_f16 v6, v33, v24
	v_cmp_gt_u32_e64 s[0:1], 34, v11
	v_lshlrev_b32_e32 v64, 2, v7
	ds_write_b32 v65, v6
	s_and_saveexec_b64 s[2:3], s[0:1]
	s_cbranch_execz .LBB0_16
; %bb.15:
	s_mov_b32 s6, 0x5040100
	v_add3_u32 v6, 0, v64, v0
	v_perm_b32 v35, v26, v34, s6
	ds_write_b32 v6, v35
.LBB0_16:
	s_or_b64 exec, exec, s[2:3]
	v_cmp_gt_u32_e64 s[2:3], 60, v11
	v_lshlrev_b32_e32 v6, 1, v11
	s_waitcnt lgkmcnt(0)
	s_barrier
	s_waitcnt lgkmcnt(0)
                                        ; implicit-def: $vgpr35
	s_and_saveexec_b64 s[6:7], s[2:3]
	s_cbranch_execz .LBB0_18
; %bb.17:
	v_add3_u32 v17, 0, v0, v6
	v_add3_u32 v35, 0, v6, v0
	ds_read_u16 v17, v17
	ds_read_u16 v18, v35 offset:120
	ds_read_u16 v28, v35 offset:240
	;; [unrolled: 1-line block ×16, first 2 shown]
.LBB0_18:
	s_or_b64 exec, exec, s[6:7]
	v_sub_f16_e32 v52, v25, v36
	v_fma_f16 v25, v25, 2.0, -v52
	v_sub_f16_e32 v51, v37, v39
	v_sub_f16_e32 v38, v27, v38
	v_fma_f16 v56, v37, 2.0, -v51
	v_sub_f16_e32 v50, v40, v41
	v_fma_f16 v57, v27, 2.0, -v38
	v_pack_b32_f16 v27, v25, v52
	v_fma_f16 v54, v40, 2.0, -v50
	v_sub_f16_e32 v37, v42, v43
	s_waitcnt lgkmcnt(0)
	s_barrier
	ds_write_b32 v58, v27
	v_pack_b32_f16 v27, v56, v51
	v_fma_f16 v53, v42, 2.0, -v37
	v_sub_f16_e32 v39, v44, v45
	ds_write_b32 v59, v27
	v_pack_b32_f16 v27, v54, v50
	v_fma_f16 v42, v44, 2.0, -v39
	v_sub_f16_e32 v40, v46, v47
	;; [unrolled: 4-line block ×3, first 2 shown]
	ds_write_b32 v61, v27
	v_pack_b32_f16 v27, v42, v39
	v_fma_f16 v55, v48, 2.0, -v41
	ds_write_b32 v62, v27
	v_pack_b32_f16 v27, v43, v40
	ds_write_b32 v63, v27
	v_pack_b32_f16 v27, v55, v41
	ds_write_b32 v65, v27
	s_and_saveexec_b64 s[6:7], s[0:1]
	s_cbranch_execz .LBB0_20
; %bb.19:
	s_mov_b32 s8, 0x5040100
	v_add3_u32 v27, 0, v64, v0
	v_perm_b32 v36, v38, v57, s8
	ds_write_b32 v27, v36
.LBB0_20:
	s_or_b64 exec, exec, s[6:7]
	s_waitcnt lgkmcnt(0)
	s_barrier
	s_waitcnt lgkmcnt(0)
                                        ; implicit-def: $vgpr59
	s_and_saveexec_b64 s[6:7], s[2:3]
	s_cbranch_execz .LBB0_22
; %bb.21:
	v_add3_u32 v25, 0, v0, v6
	v_add3_u32 v27, 0, v6, v0
	ds_read_u16 v25, v25
	ds_read_u16 v52, v27 offset:120
	ds_read_u16 v56, v27 offset:240
	;; [unrolled: 1-line block ×16, first 2 shown]
.LBB0_22:
	s_or_b64 exec, exec, s[6:7]
	v_and_b32_e32 v27, 1, v11
	v_lshlrev_b32_e32 v36, 6, v27
	global_load_dwordx4 v[44:47], v36, s[12:13]
	global_load_dwordx4 v[64:67], v36, s[12:13] offset:16
	global_load_dwordx4 v[68:71], v36, s[12:13] offset:32
	;; [unrolled: 1-line block ×3, first 2 shown]
	s_mov_b32 s6, 0xb964bb29
	s_mov_b32 s8, 0x39e93722
	;; [unrolled: 1-line block ×9, first 2 shown]
	s_waitcnt vmcnt(0) lgkmcnt(0)
	s_barrier
	v_mul_f16_sdwa v36, v52, v44 dst_sel:DWORD dst_unused:UNUSED_PAD src0_sel:DWORD src1_sel:WORD_1
	v_mul_f16_sdwa v48, v18, v44 dst_sel:DWORD dst_unused:UNUSED_PAD src0_sel:DWORD src1_sel:WORD_1
	;; [unrolled: 1-line block ×32, first 2 shown]
	v_fma_f16 v36, v18, v44, v36
	v_fma_f16 v44, v52, v44, -v48
	v_fma_f16 v59, v59, v75, -v100
	v_fma_f16 v60, v28, v45, v49
	v_fma_f16 v45, v56, v45, -v58
	v_fma_f16 v61, v19, v46, v61
	;; [unrolled: 2-line block ×15, first 2 shown]
	v_sub_f16_e32 v38, v44, v59
	v_add_f16_e32 v18, v36, v74
	v_sub_f16_e32 v37, v45, v58
	v_pk_mul_f16 v39, v38, s6 op_sel_hi:[0,1]
	s_mov_b32 s6, 0xbbf7ba62
	v_add_f16_e32 v19, v60, v73
	v_sub_f16_e32 v35, v46, v57
	v_pk_fma_f16 v26, v18, s8, v39 op_sel_hi:[0,1,1] neg_lo:[0,0,1] neg_hi:[0,0,1]
	v_pk_mul_f16 v40, v37, s6 op_sel_hi:[0,1]
	s_mov_b32 s6, 0xba6231e1
	v_add_f16_e32 v20, v61, v72
	v_sub_f16_e32 v34, v47, v56
	v_pk_add_f16 v26, v17, v26 op_sel_hi:[0,1]
	v_pk_fma_f16 v28, v19, s9, v40 op_sel_hi:[0,1,1] neg_lo:[0,0,1] neg_hi:[0,0,1]
	v_pk_mul_f16 v41, v35, s6 op_sel_hi:[0,1]
	s_mov_b32 s6, 0xb1e13bb2
	v_add_f16_e32 v21, v62, v71
	v_sub_f16_e32 v33, v48, v55
	v_pk_add_f16 v26, v28, v26
	v_pk_fma_f16 v28, v20, s14, v41 op_sel_hi:[0,1,1] neg_lo:[0,0,1] neg_hi:[0,0,1]
	v_pk_mul_f16 v42, v34, s6 op_sel_hi:[0,1]
	s_mov_b32 s6, 0x38363964
	v_add_f16_e32 v22, v63, v70
	v_sub_f16_e32 v32, v49, v54
	v_pk_add_f16 v26, v28, v26
	;; [unrolled: 6-line block ×4, first 2 shown]
	v_pk_fma_f16 v28, v23, s17, v75 op_sel_hi:[0,1,1] neg_lo:[0,0,1] neg_hi:[0,0,1]
	v_pk_mul_f16 v76, v31, s6 op_sel_hi:[0,1]
	s_mov_b32 s6, 0x35c8b836
	v_add_f16_e32 v29, v66, v67
	v_pk_add_f16 v26, v28, v26
	v_pk_fma_f16 v28, v24, s18, v76 op_sel_hi:[0,1,1] neg_lo:[0,0,1] neg_hi:[0,0,1]
	v_pk_mul_f16 v77, v30, s6 op_sel_hi:[0,1]
	v_pk_add_f16 v26, v28, v26
	v_pk_fma_f16 v28, v29, s19, v77 op_sel_hi:[0,1,1] neg_lo:[0,0,1] neg_hi:[0,0,1]
	v_pk_add_f16 v26, v28, v26
	v_lshrrev_b32_e32 v28, 1, v11
	s_and_saveexec_b64 s[6:7], s[2:3]
	s_cbranch_execz .LBB0_24
; %bb.23:
	v_pk_mul_f16 v78, v18, s8 op_sel_hi:[0,1]
	v_mul_f16_e32 v87, 0xb1e1, v38
	s_mov_b32 s8, 0xbbdd
	v_pk_mul_f16 v80, v20, s14 op_sel_hi:[0,1]
	v_fma_f16 v88, v18, s8, -v87
	v_mul_f16_e32 v89, 0x35c8, v37
	s_movk_i32 s14, 0x3b76
	v_add_f16_e32 v88, v17, v88
	v_fma_f16 v90, v19, s14, -v89
	v_pk_mul_f16 v79, v19, s9 op_sel_hi:[0,1]
	v_add_f16_e32 v88, v90, v88
	v_mul_f16_e32 v90, 0xb836, v35
	s_mov_b32 s9, 0xbacd
	v_fma_f16 v91, v20, s9, -v90
	v_pk_mul_f16 v82, v22, s16 op_sel_hi:[0,1]
	v_add_f16_e32 v88, v91, v88
	v_mul_f16_e32 v91, 0x3964, v34
	s_movk_i32 s16, 0x39e9
	v_fma_f16 v92, v21, s16, -v91
	v_pk_mul_f16 v81, v21, s15 op_sel_hi:[0,1]
	v_add_f16_e32 v88, v92, v88
	v_mul_f16_e32 v92, 0xba62, v33
	s_mov_b32 s15, 0xb8d2
	v_fma_f16 v87, v18, s8, v87
	v_fma_f16 v93, v22, s15, -v92
	v_add_f16_e32 v87, v17, v87
	v_fma_f16 v89, v19, s14, v89
	v_pk_mul_f16 v83, v23, s17 op_sel_hi:[0,1]
	v_add_f16_e32 v88, v93, v88
	v_mul_f16_e32 v93, 0x3b29, v32
	s_movk_i32 s17, 0x3722
	v_add_f16_e32 v87, v89, v87
	v_fma_f16 v89, v20, s9, v90
	v_fma_f16 v94, v23, s17, -v93
	v_add_f16_e32 v87, v89, v87
	v_fma_f16 v89, v21, s16, v91
	v_pk_mul_f16 v84, v24, s18 op_sel_hi:[0,1]
	v_add_f16_e32 v88, v94, v88
	v_mul_f16_e32 v94, 0xbbb2, v31
	s_mov_b32 s18, 0xb461
	v_add_f16_e32 v87, v89, v87
	v_fma_f16 v89, v22, s15, v92
	v_fma_f16 v95, v24, s18, -v94
	v_add_f16_e32 v87, v89, v87
	v_fma_f16 v89, v23, s17, v93
	v_pk_mul_f16 v85, v29, s19 op_sel_hi:[0,1]
	v_add_f16_e32 v88, v95, v88
	v_mul_f16_e32 v95, 0x3bf7, v30
	s_movk_i32 s19, 0x2de8
	v_add_f16_e32 v87, v89, v87
	v_fma_f16 v89, v24, s18, v94
	v_add_f16_e32 v87, v89, v87
	v_fma_f16 v89, v29, s19, v95
	v_add_f16_e32 v87, v89, v87
	v_mul_f16_e32 v89, 0xb836, v38
	v_fma_f16 v90, v18, s9, -v89
	v_mul_f16_e32 v91, 0x3b29, v37
	v_add_f16_e32 v90, v17, v90
	v_fma_f16 v92, v19, s17, -v91
	v_add_f16_e32 v90, v92, v90
	v_mul_f16_e32 v92, 0xbbf7, v35
	v_fma_f16 v93, v20, s19, -v92
	v_add_f16_e32 v90, v93, v90
	v_mul_f16_e32 v93, 0x3a62, v34
	v_fma_f16 v94, v21, s15, -v93
	v_add_f16_e32 v90, v94, v90
	v_mul_f16_e32 v94, 0xb5c8, v33
	v_fma_f16 v89, v18, s9, v89
	v_fma_f16 v96, v29, s19, -v95
	v_fma_f16 v95, v22, s14, -v94
	v_add_f16_e32 v89, v17, v89
	v_fma_f16 v91, v19, s17, v91
	v_add_f16_e32 v90, v95, v90
	v_mul_f16_e32 v95, 0xb1e1, v32
	v_add_f16_e32 v89, v91, v89
	v_fma_f16 v91, v20, s19, v92
	v_add_f16_e32 v88, v96, v88
	v_fma_f16 v96, v23, s8, -v95
	v_add_f16_e32 v89, v91, v89
	v_fma_f16 v91, v21, s15, v93
	v_add_f16_e32 v90, v96, v90
	v_mul_f16_e32 v96, 0x3964, v31
	v_add_f16_e32 v89, v91, v89
	v_fma_f16 v91, v22, s14, v94
	v_fma_f16 v97, v24, s16, -v96
	v_add_f16_e32 v89, v91, v89
	v_fma_f16 v91, v23, s8, v95
	v_add_f16_e32 v90, v97, v90
	v_mul_f16_e32 v97, 0xbbb2, v30
	v_add_f16_e32 v89, v91, v89
	v_fma_f16 v91, v24, s16, v96
	v_add_f16_e32 v89, v91, v89
	v_fma_f16 v91, v29, s18, v97
	v_add_f16_e32 v89, v91, v89
	v_mul_f16_e32 v91, 0xba62, v38
	v_fma_f16 v92, v18, s15, -v91
	v_mul_f16_e32 v93, 0x3bb2, v37
	v_add_f16_e32 v92, v17, v92
	v_fma_f16 v94, v19, s18, -v93
	v_add_f16_e32 v92, v94, v92
	v_mul_f16_e32 v94, 0xb5c8, v35
	v_fma_f16 v95, v20, s14, -v94
	v_add_f16_e32 v92, v95, v92
	v_mul_f16_e32 v95, 0xb836, v34
	v_fma_f16 v96, v21, s9, -v95
	v_add_f16_e32 v92, v96, v92
	v_mul_f16_e32 v96, 0x3bf7, v33
	v_fma_f16 v91, v18, s15, v91
	v_fma_f16 v98, v29, s18, -v97
	v_fma_f16 v97, v22, s19, -v96
	v_add_f16_e32 v91, v17, v91
	v_fma_f16 v93, v19, s18, v93
	v_add_f16_e32 v92, v97, v92
	v_mul_f16_e32 v97, 0xb964, v32
	v_add_f16_e32 v91, v93, v91
	v_fma_f16 v93, v20, s14, v94
	v_add_f16_e32 v90, v98, v90
	v_fma_f16 v98, v23, s16, -v97
	v_add_f16_e32 v91, v93, v91
	v_fma_f16 v93, v21, s9, v95
	v_add_f16_e32 v92, v98, v92
	v_mul_f16_e32 v98, 0xb1e1, v31
	v_add_f16_e32 v91, v93, v91
	v_fma_f16 v93, v22, s19, v96
	v_fma_f16 v99, v24, s8, -v98
	v_add_f16_e32 v91, v93, v91
	v_fma_f16 v93, v23, s16, v97
	v_add_f16_e32 v92, v99, v92
	v_mul_f16_e32 v99, 0x3b29, v30
	;; [unrolled: 40-line block ×3, first 2 shown]
	v_add_f16_e32 v93, v95, v93
	v_fma_f16 v95, v24, s14, v100
	v_add_f16_e32 v93, v95, v93
	v_fma_f16 v95, v29, s15, v101
	v_add_f16_e32 v93, v95, v93
	v_mul_f16_e32 v95, 0xbbf7, v38
	v_fma_f16 v96, v18, s19, -v95
	v_mul_f16_e32 v97, 0xb1e1, v37
	v_add_f16_e32 v96, v17, v96
	v_fma_f16 v98, v19, s8, -v97
	v_add_f16_e32 v86, v17, v36
	v_add_f16_e32 v96, v98, v96
	v_mul_f16_e32 v98, 0x3bb2, v35
	v_add_f16_e32 v86, v86, v60
	v_fma_f16 v99, v20, s18, -v98
	v_add_f16_e32 v86, v86, v61
	v_add_f16_e32 v96, v99, v96
	v_mul_f16_e32 v99, 0x35c8, v34
	v_pk_add_f16 v39, v78, v39
	v_add_f16_e32 v86, v86, v62
	v_fma_f16 v100, v21, s14, -v99
	v_add_f16_e32 v78, v17, v39
	v_pk_add_f16 v40, v79, v40
	v_add_f16_sdwa v39, v17, v39 dst_sel:DWORD dst_unused:UNUSED_PAD src0_sel:DWORD src1_sel:WORD_1
	v_mul_f16_e32 v38, 0xb5c8, v38
	v_add_f16_e32 v86, v86, v63
	v_add_f16_e32 v96, v100, v96
	v_mul_f16_e32 v100, 0xbb29, v33
	v_fma_f16 v95, v18, s19, v95
	v_add_f16_e32 v78, v40, v78
	v_add_f16_sdwa v39, v40, v39 dst_sel:DWORD dst_unused:UNUSED_PAD src0_sel:WORD_1 src1_sel:DWORD
	v_fma_f16 v40, v18, s14, -v38
	v_mul_f16_e32 v37, 0xb964, v37
	v_fma_f16 v18, v18, s14, v38
	v_add_f16_e32 v86, v86, v64
	v_fma_f16 v102, v29, s15, -v101
	v_fma_f16 v101, v22, s17, -v100
	v_add_f16_e32 v95, v17, v95
	v_add_f16_e32 v40, v17, v40
	v_mul_f16_e32 v35, 0xbb29, v35
	v_add_f16_e32 v17, v17, v18
	v_fma_f16 v18, v19, s16, v37
	v_add_f16_e32 v86, v86, v65
	v_add_f16_e32 v96, v101, v96
	v_mul_f16_e32 v101, 0xb836, v32
	v_mul_f16_e32 v34, 0xbbf7, v34
	v_add_f16_e32 v17, v18, v17
	v_fma_f16 v18, v20, s17, v35
	v_add_f16_e32 v86, v86, v66
	v_add_f16_e32 v94, v102, v94
	v_fma_f16 v102, v23, s9, -v101
	v_mul_f16_e32 v33, 0xbbb2, v33
	v_add_f16_e32 v17, v18, v17
	v_fma_f16 v18, v21, s19, v34
	v_add_f16_e32 v86, v86, v67
	v_add_f16_e32 v96, v102, v96
	v_mul_f16_e32 v102, 0x3a62, v31
	v_pk_add_f16 v41, v80, v41
	v_mul_f16_e32 v32, 0xba62, v32
	v_add_f16_e32 v17, v18, v17
	v_fma_f16 v18, v22, s18, v33
	v_add_f16_e32 v86, v86, v68
	v_fma_f16 v103, v24, s15, -v102
	v_fma_f16 v97, v19, s8, v97
	v_add_f16_e32 v78, v41, v78
	v_add_f16_sdwa v39, v41, v39 dst_sel:DWORD dst_unused:UNUSED_PAD src0_sel:WORD_1 src1_sel:DWORD
	v_fma_f16 v41, v19, s16, -v37
	v_mul_f16_e32 v31, 0xb836, v31
	v_add_f16_e32 v17, v18, v17
	v_fma_f16 v18, v23, s15, v32
	v_add_f16_e32 v86, v86, v69
	v_add_f16_e32 v96, v103, v96
	v_mul_f16_e32 v103, 0x3964, v30
	v_add_f16_e32 v95, v97, v95
	v_fma_f16 v97, v20, s18, v98
	v_add_f16_e32 v40, v41, v40
	v_fma_f16 v41, v20, s17, -v35
	v_mul_f16_e32 v30, 0xb1e1, v30
	v_add_f16_e32 v17, v18, v17
	v_fma_f16 v18, v24, s9, v31
	v_add_f16_e32 v86, v86, v70
	v_add_f16_e32 v95, v97, v95
	v_fma_f16 v97, v21, s14, v99
	v_pk_add_f16 v42, v81, v42
	v_add_f16_e32 v40, v41, v40
	v_fma_f16 v41, v21, s19, -v34
	v_add_f16_e32 v17, v18, v17
	v_fma_f16 v18, v29, s8, v30
	v_add_f16_e32 v86, v86, v71
	v_add_f16_e32 v95, v97, v95
	v_fma_f16 v97, v22, s17, v100
	v_add_f16_e32 v78, v42, v78
	v_pk_add_f16 v43, v82, v43
	v_add_f16_sdwa v39, v42, v39 dst_sel:DWORD dst_unused:UNUSED_PAD src0_sel:WORD_1 src1_sel:DWORD
	v_add_f16_e32 v40, v41, v40
	v_fma_f16 v41, v22, s18, -v33
	v_add_f16_e32 v17, v18, v17
	v_mul_u32_u24_e32 v18, 34, v28
	v_add_f16_e32 v86, v86, v72
	v_add_f16_e32 v95, v97, v95
	v_fma_f16 v97, v23, s9, v101
	v_add_f16_e32 v78, v43, v78
	v_pk_add_f16 v75, v83, v75
	v_add_f16_sdwa v39, v43, v39 dst_sel:DWORD dst_unused:UNUSED_PAD src0_sel:WORD_1 src1_sel:DWORD
	v_add_f16_e32 v40, v41, v40
	v_fma_f16 v41, v23, s15, -v32
	v_or_b32_e32 v18, v18, v27
	v_add_f16_e32 v86, v86, v73
	v_add_f16_e32 v95, v97, v95
	v_fma_f16 v97, v24, s15, v102
	v_add_f16_e32 v78, v75, v78
	v_pk_add_f16 v76, v84, v76
	v_add_f16_sdwa v39, v75, v39 dst_sel:DWORD dst_unused:UNUSED_PAD src0_sel:WORD_1 src1_sel:DWORD
	v_add_f16_e32 v40, v41, v40
	v_fma_f16 v41, v24, s9, -v31
	v_lshlrev_b32_e32 v18, 1, v18
	v_add_f16_e32 v86, v86, v74
	v_fma_f16 v104, v29, s16, -v103
	v_add_f16_e32 v95, v97, v95
	v_fma_f16 v97, v29, s16, v103
	v_add_f16_e32 v78, v76, v78
	v_pk_add_f16 v77, v85, v77
	v_add_f16_sdwa v39, v76, v39 dst_sel:DWORD dst_unused:UNUSED_PAD src0_sel:WORD_1 src1_sel:DWORD
	v_add_f16_e32 v40, v41, v40
	v_fma_f16 v41, v29, s8, -v30
	v_add3_u32 v18, 0, v18, v0
	v_add_f16_e32 v96, v104, v96
	v_add_f16_e32 v95, v97, v95
	;; [unrolled: 1-line block ×3, first 2 shown]
	v_add_f16_sdwa v39, v77, v39 dst_sel:DWORD dst_unused:UNUSED_PAD src0_sel:WORD_1 src1_sel:DWORD
	v_add_f16_e32 v40, v41, v40
	ds_write_b16 v18, v86
	ds_write_b16 v18, v17 offset:4
	ds_write_b16 v18, v39 offset:8
	;; [unrolled: 1-line block ×14, first 2 shown]
	ds_write_b16_d16_hi v18, v26 offset:60
	ds_write_b16 v18, v40 offset:64
.LBB0_24:
	s_or_b64 exec, exec, s[6:7]
	v_add_u32_e32 v24, 0, v0
	v_lshl_add_u32 v18, v14, 1, v24
	s_waitcnt lgkmcnt(0)
	s_barrier
	v_add_u32_e32 v17, v24, v6
	v_add3_u32 v19, 0, v6, v0
	v_lshl_add_u32 v20, v10, 1, v24
	v_lshl_add_u32 v21, v12, 1, v24
	;; [unrolled: 1-line block ×5, first 2 shown]
	ds_read_u16 v37, v18
	ds_read_u16 v38, v20
	;; [unrolled: 1-line block ×7, first 2 shown]
	ds_read_u16 v35, v19 offset:1020
	ds_read_u16 v34, v19 offset:1156
	;; [unrolled: 1-line block ×7, first 2 shown]
	s_and_saveexec_b64 s[6:7], s[0:1]
	s_cbranch_execz .LBB0_26
; %bb.25:
	ds_read_u16 v26, v19 offset:952
	ds_read_u16 v75, v19 offset:1972
	s_mov_b32 s8, 0x5040100
	s_waitcnt lgkmcnt(0)
	v_perm_b32 v26, v75, v26, s8
.LBB0_26:
	s_or_b64 exec, exec, s[6:7]
	v_add_f16_e32 v83, v44, v59
	s_mov_b32 s6, 0x39e93722
	v_sub_f16_e32 v82, v36, v74
	v_add_f16_e32 v81, v45, v58
	v_sub_f16_e32 v76, v62, v71
	v_pk_mul_f16 v62, v83, s6 op_sel_hi:[0,1]
	s_mov_b32 s8, 0xb964bb29
	s_mov_b32 s6, 0x2de8b8d2
	v_sub_f16_e32 v80, v60, v73
	v_sub_f16_e32 v74, v63, v70
	v_pk_fma_f16 v36, v82, s8, v62 op_sel_hi:[0,1,1]
	v_pk_mul_f16 v63, v81, s6 op_sel_hi:[0,1]
	s_mov_b32 s9, 0xbbf7ba62
	v_add_f16_e32 v79, v46, v57
	v_sub_f16_e32 v78, v61, v72
	v_sub_f16_e32 v72, v64, v69
	;; [unrolled: 1-line block ×3, first 2 shown]
	v_pk_add_f16 v36, v25, v36 op_sel_hi:[0,1]
	v_pk_fma_f16 v65, v80, s9, v63 op_sel_hi:[0,1,1]
	s_mov_b32 s6, 0xb8d2bbdd
	v_pk_add_f16 v36, v65, v36
	v_pk_mul_f16 v65, v79, s6 op_sel_hi:[0,1]
	s_mov_b32 s14, 0xba6231e1
	v_add_f16_e32 v77, v47, v56
	v_sub_f16_e32 v60, v66, v67
	v_pk_fma_f16 v66, v78, s14, v65 op_sel_hi:[0,1,1]
	s_mov_b32 s6, 0xbbddb461
	v_pk_add_f16 v36, v66, v36
	v_pk_mul_f16 v66, v77, s6 op_sel_hi:[0,1]
	s_mov_b32 s15, 0xb1e13bb2
	v_add_f16_e32 v75, v48, v55
	v_pk_fma_f16 v67, v76, s15, v66 op_sel_hi:[0,1,1]
	s_mov_b32 s6, 0xbacd39e9
	v_pk_add_f16 v36, v67, v36
	v_pk_mul_f16 v67, v75, s6 op_sel_hi:[0,1]
	s_mov_b32 s16, 0x38363964
	v_add_f16_e32 v73, v49, v54
	;; [unrolled: 6-line block ×4, first 2 shown]
	v_pk_fma_f16 v71, v64, s18, v70 op_sel_hi:[0,1,1]
	s_mov_b32 s6, 0x3b76bacd
	v_pk_add_f16 v36, v71, v36
	v_pk_mul_f16 v71, v61, s6 op_sel_hi:[0,1]
	s_mov_b32 s19, 0x35c8b836
	v_pk_fma_f16 v84, v60, s19, v71 op_sel_hi:[0,1,1]
	v_pk_add_f16 v36, v84, v36
	s_waitcnt lgkmcnt(0)
	s_barrier
	s_and_saveexec_b64 s[6:7], s[2:3]
	s_cbranch_execz .LBB0_28
; %bb.27:
	v_add_f16_e32 v44, v25, v44
	v_add_f16_e32 v44, v44, v45
	;; [unrolled: 1-line block ×12, first 2 shown]
	v_pk_mul_f16 v90, v64, s18 op_sel_hi:[0,1]
	v_pk_mul_f16 v91, v60, s19 op_sel_hi:[0,1]
	v_add_f16_e32 v44, v44, v56
	v_mul_f16_e32 v45, 0x3b76, v83
	s_movk_i32 s18, 0x35c8
	s_mov_b32 s19, 0xb5c8
	v_pk_mul_f16 v88, v74, s16 op_sel_hi:[0,1]
	v_pk_mul_f16 v89, v72, s17 op_sel_hi:[0,1]
	v_add_f16_e32 v44, v44, v57
	v_fma_f16 v46, v82, s18, v45
	v_fma_f16 v45, v82, s19, v45
	v_mul_f16_e32 v57, 0x39e9, v81
	s_movk_i32 s16, 0x3964
	s_mov_b32 s17, 0xb964
	v_add_f16_e32 v44, v44, v58
	v_add_f16_e32 v45, v25, v45
	v_mul_f16_e32 v47, 0x2de8, v83
	s_movk_i32 s2, 0x3bf7
	s_mov_b32 s3, 0xbbf7
	v_fma_f16 v58, v80, s16, v57
	v_fma_f16 v57, v80, s17, v57
	v_add_f16_e32 v46, v25, v46
	v_fma_f16 v48, v82, s2, v47
	v_fma_f16 v47, v82, s3, v47
	s_movk_i32 s26, 0x31e1
	s_mov_b32 s27, 0xb1e1
	v_add_f16_e32 v45, v57, v45
	v_mul_f16_e32 v57, 0xbbdd, v81
	v_pk_mul_f16 v84, v82, s8 op_sel_hi:[0,1]
	v_pk_mul_f16 v85, v80, s9 op_sel_hi:[0,1]
	v_add_f16_e32 v47, v25, v47
	v_mul_f16_e32 v49, 0xb461, v83
	s_movk_i32 s8, 0x3bb2
	s_mov_b32 s9, 0xbbb2
	v_add_f16_e32 v46, v58, v46
	v_fma_f16 v58, v80, s26, v57
	v_fma_f16 v57, v80, s27, v57
	v_add_f16_e32 v48, v25, v48
	v_fma_f16 v50, v82, s8, v49
	v_fma_f16 v49, v82, s9, v49
	s_movk_i32 s24, 0x3836
	s_mov_b32 s25, 0xb836
	v_add_f16_e32 v47, v57, v47
	v_mul_f16_e32 v57, 0xbacd, v81
	v_pk_mul_f16 v86, v78, s14 op_sel_hi:[0,1]
	v_pk_mul_f16 v87, v76, s15 op_sel_hi:[0,1]
	v_add_f16_e32 v49, v25, v49
	v_mul_f16_e32 v51, 0xb8d2, v83
	s_movk_i32 s14, 0x3a62
	s_mov_b32 s15, 0xba62
	v_add_f16_e32 v48, v58, v48
	v_fma_f16 v58, v80, s25, v57
	v_fma_f16 v57, v80, s24, v57
	v_add_f16_e32 v50, v25, v50
	v_fma_f16 v52, v82, s14, v51
	v_fma_f16 v51, v82, s15, v51
	v_add_f16_e32 v49, v57, v49
	v_mul_f16_e32 v57, 0xb461, v81
	v_add_f16_e32 v51, v25, v51
	v_mul_f16_e32 v53, 0xbacd, v83
	v_add_f16_e32 v50, v58, v50
	v_fma_f16 v58, v80, s9, v57
	v_fma_f16 v57, v80, s8, v57
	v_add_f16_e32 v52, v25, v52
	v_fma_f16 v54, v82, s24, v53
	v_fma_f16 v53, v82, s25, v53
	v_add_f16_e32 v51, v57, v51
	v_mul_f16_e32 v57, 0x3722, v81
	s_mov_b32 s22, 0xbb29
	s_movk_i32 s23, 0x3b29
	v_add_f16_e32 v53, v25, v53
	v_mul_f16_e32 v55, 0xbbdd, v83
	v_add_f16_e32 v52, v58, v52
	v_fma_f16 v58, v80, s22, v57
	v_fma_f16 v57, v80, s23, v57
	v_add_f16_e32 v54, v25, v54
	v_fma_f16 v56, v82, s26, v55
	v_fma_f16 v55, v82, s27, v55
	v_add_f16_e32 v53, v57, v53
	v_mul_f16_e32 v57, 0x3b76, v81
	v_add_f16_e32 v55, v25, v55
	v_add_f16_e32 v54, v58, v54
	v_fma_f16 v58, v80, s19, v57
	v_fma_f16 v57, v80, s18, v57
	v_add_f16_e32 v56, v25, v56
	v_add_f16_e32 v55, v57, v55
	v_mul_f16_e32 v57, 0x3722, v79
	v_add_f16_e32 v56, v58, v56
	v_fma_f16 v58, v78, s23, v57
	v_fma_f16 v57, v78, s22, v57
	v_add_f16_e32 v45, v57, v45
	v_mul_f16_e32 v57, 0xb461, v79
	v_add_f16_e32 v46, v58, v46
	v_fma_f16 v58, v78, s9, v57
	v_fma_f16 v57, v78, s8, v57
	;; [unrolled: 5-line block ×31, first 2 shown]
	v_add_f16_e32 v45, v57, v45
	v_pk_add_f16 v57, v62, v84 neg_lo:[0,1] neg_hi:[0,1]
	v_add_f16_e32 v46, v58, v46
	v_add_f16_sdwa v58, v25, v57 dst_sel:DWORD dst_unused:UNUSED_PAD src0_sel:DWORD src1_sel:WORD_1
	v_add_f16_e32 v25, v25, v57
	v_pk_add_f16 v57, v63, v85 neg_lo:[0,1] neg_hi:[0,1]
	v_add_f16_sdwa v58, v57, v58 dst_sel:DWORD dst_unused:UNUSED_PAD src0_sel:WORD_1 src1_sel:DWORD
	v_add_f16_e32 v25, v57, v25
	v_pk_add_f16 v57, v65, v86 neg_lo:[0,1] neg_hi:[0,1]
	v_add_f16_sdwa v58, v57, v58 dst_sel:DWORD dst_unused:UNUSED_PAD src0_sel:WORD_1 src1_sel:DWORD
	;; [unrolled: 3-line block ×7, first 2 shown]
	v_add_f16_e32 v25, v57, v25
	v_mul_f16_e32 v57, 0x39e9, v61
	v_add_f16_e32 v44, v44, v59
	v_fma_f16 v59, v60, s17, v57
	v_fma_f16 v57, v60, s16, v57
	v_add_f16_e32 v47, v57, v47
	v_mul_f16_e32 v57, 0xb8d2, v61
	v_add_f16_e32 v48, v59, v48
	v_fma_f16 v59, v60, s14, v57
	v_fma_f16 v57, v60, s15, v57
	;; [unrolled: 5-line block ×3, first 2 shown]
	v_add_f16_e32 v51, v57, v51
	v_mul_f16_e32 v57, 0xb461, v61
	v_mul_u32_u24_e32 v28, 34, v28
	v_add_f16_e32 v52, v59, v52
	v_fma_f16 v59, v60, s8, v57
	v_fma_f16 v57, v60, s9, v57
	v_or_b32_e32 v27, v28, v27
	v_add_f16_e32 v53, v57, v53
	v_mul_f16_e32 v57, 0x2de8, v61
	v_lshlrev_b32_e32 v27, 1, v27
	v_add_f16_e32 v54, v59, v54
	v_fma_f16 v59, v60, s3, v57
	v_fma_f16 v57, v60, s2, v57
	v_add3_u32 v27, 0, v27, v0
	v_add_f16_e32 v56, v59, v56
	v_add_f16_e32 v55, v57, v55
	ds_write_b16 v27, v44
	ds_write_b16 v27, v46 offset:4
	ds_write_b16 v27, v58 offset:8
	;; [unrolled: 1-line block ×14, first 2 shown]
	ds_write_b16_d16_hi v27, v36 offset:60
	ds_write_b16 v27, v45 offset:64
.LBB0_28:
	s_or_b64 exec, exec, s[6:7]
	s_waitcnt lgkmcnt(0)
	s_barrier
	ds_read_u16 v25, v18
	ds_read_u16 v27, v20
	;; [unrolled: 1-line block ×7, first 2 shown]
	ds_read_u16 v54, v19 offset:1020
	ds_read_u16 v53, v19 offset:1156
	;; [unrolled: 1-line block ×7, first 2 shown]
	s_and_saveexec_b64 s[2:3], s[0:1]
	s_cbranch_execz .LBB0_30
; %bb.29:
	ds_read_u16 v36, v19 offset:952
	ds_read_u16 v55, v19 offset:1972
	s_mov_b32 s6, 0x5040100
	s_waitcnt lgkmcnt(0)
	v_perm_b32 v36, v55, v36, s6
.LBB0_30:
	s_or_b64 exec, exec, s[2:3]
	v_subrev_u32_e32 v55, 34, v11
	v_cndmask_b32_e64 v61, v55, v11, s[0:1]
	v_mov_b32_e32 v62, 0
	v_lshlrev_b64 v[55:56], 2, v[61:62]
	v_mov_b32_e32 v57, s13
	v_add_co_u32_e64 v55, s[2:3], s12, v55
	v_addc_co_u32_e64 v56, s[2:3], v57, v56, s[2:3]
	s_movk_i32 s2, 0xf1
	v_mul_lo_u16_sdwa v57, v14, s2 dst_sel:DWORD dst_unused:UNUSED_PAD src0_sel:BYTE_0 src1_sel:DWORD
	v_lshrrev_b16_e32 v62, 13, v57
	v_mul_lo_u16_e32 v57, 34, v62
	v_sub_u16_e32 v63, v14, v57
	v_mul_lo_u16_sdwa v57, v10, s2 dst_sel:DWORD dst_unused:UNUSED_PAD src0_sel:BYTE_0 src1_sel:DWORD
	v_lshrrev_b16_e32 v65, 13, v57
	v_mul_lo_u16_e32 v57, 34, v65
	v_mov_b32_e32 v14, 2
	v_sub_u16_e32 v66, v10, v57
	s_mov_b32 s2, 0xf0f1
	v_lshlrev_b32_sdwa v64, v14, v63 dst_sel:DWORD dst_unused:UNUSED_PAD src0_sel:DWORD src1_sel:BYTE_0
	v_lshlrev_b32_sdwa v67, v14, v66 dst_sel:DWORD dst_unused:UNUSED_PAD src0_sel:DWORD src1_sel:BYTE_0
	v_mul_u32_u24_sdwa v14, v12, s2 dst_sel:DWORD dst_unused:UNUSED_PAD src0_sel:WORD_0 src1_sel:DWORD
	v_lshrrev_b32_e32 v68, 21, v14
	v_mul_lo_u16_e32 v14, 34, v68
	v_sub_u16_e32 v69, v12, v14
	v_mul_u32_u24_sdwa v14, v13, s2 dst_sel:DWORD dst_unused:UNUSED_PAD src0_sel:WORD_0 src1_sel:DWORD
	v_lshrrev_b32_e32 v71, 21, v14
	v_mul_lo_u16_e32 v14, 34, v71
	v_sub_u16_e32 v72, v13, v14
	;; [unrolled: 4-line block ×4, first 2 shown]
	v_lshlrev_b32_e32 v70, 2, v69
	v_lshlrev_b32_e32 v73, 2, v72
	;; [unrolled: 1-line block ×3, first 2 shown]
	global_load_dword v59, v[55:56], off offset:128
	v_lshlrev_b32_e32 v55, 2, v78
	global_load_dword v60, v64, s[12:13] offset:128
	global_load_dword v58, v67, s[12:13] offset:128
	;; [unrolled: 1-line block ×6, first 2 shown]
	v_mul_u32_u24_sdwa v55, v7, s2 dst_sel:DWORD dst_unused:UNUSED_PAD src0_sel:WORD_0 src1_sel:DWORD
	v_lshrrev_b32_e32 v55, 21, v55
	v_mul_lo_u16_e32 v55, 34, v55
	v_sub_u16_e32 v64, v7, v55
	v_lshlrev_b32_e32 v7, 2, v64
	global_load_dword v7, v7, s[12:13] offset:128
	v_mov_b32_e32 v67, 0x88
	v_cmp_lt_u32_e64 s[2:3], 33, v11
	s_movk_i32 s6, 0x88
	s_waitcnt vmcnt(0) lgkmcnt(0)
	s_barrier
	v_lshrrev_b32_e32 v55, 16, v36
	v_lshrrev_b32_e32 v56, 16, v26
	v_mul_f16_sdwa v73, v53, v60 dst_sel:DWORD dst_unused:UNUSED_PAD src0_sel:DWORD src1_sel:WORD_1
	v_mul_f16_sdwa v76, v52, v58 dst_sel:DWORD dst_unused:UNUSED_PAD src0_sel:DWORD src1_sel:WORD_1
	;; [unrolled: 1-line block ×4, first 2 shown]
	v_fma_f16 v76, v33, v58, v76
	v_mul_f16_sdwa v81, v49, v15 dst_sel:DWORD dst_unused:UNUSED_PAD src0_sel:DWORD src1_sel:WORD_1
	v_fma_f16 v79, v32, v57, v79
	v_fma_f16 v80, v31, v16, v80
	v_sub_f16_e32 v76, v38, v76
	v_mul_f16_sdwa v70, v54, v59 dst_sel:DWORD dst_unused:UNUSED_PAD src0_sel:DWORD src1_sel:WORD_1
	v_fma_f16 v81, v30, v15, v81
	v_sub_f16_e32 v79, v39, v79
	v_sub_f16_e32 v80, v40, v80
	v_fma_f16 v83, v38, 2.0, -v76
	v_cndmask_b32_e64 v38, 0, v67, s[2:3]
	v_fma_f16 v70, v35, v59, v70
	v_fma_f16 v73, v34, v60, v73
	v_sub_f16_e32 v81, v41, v81
	v_fma_f16 v84, v39, 2.0, -v79
	v_fma_f16 v85, v40, 2.0, -v80
	v_add_u32_e32 v38, 0, v38
	v_lshlrev_b32_e32 v39, 1, v61
	v_mov_b32_e32 v40, 1
	v_sub_f16_e32 v70, v43, v70
	v_sub_f16_e32 v73, v37, v73
	v_fma_f16 v86, v41, 2.0, -v81
	v_add3_u32 v38, v38, v39, v0
	v_mad_u32_u24 v39, v62, s6, 0
	v_lshlrev_b32_sdwa v41, v40, v63 dst_sel:DWORD dst_unused:UNUSED_PAD src0_sel:DWORD src1_sel:BYTE_0
	v_fma_f16 v43, v43, 2.0, -v70
	v_fma_f16 v37, v37, 2.0, -v73
	v_add3_u32 v39, v39, v41, v0
	ds_write_b16 v38, v43
	ds_write_b16 v38, v70 offset:68
	ds_write_b16 v39, v37
	ds_write_b16 v39, v73 offset:68
	v_mad_u32_u24 v37, v65, s6, 0
	v_lshlrev_b32_sdwa v40, v40, v66 dst_sel:DWORD dst_unused:UNUSED_PAD src0_sel:DWORD src1_sel:BYTE_0
	v_add3_u32 v40, v37, v40, v0
	v_mad_u32_u24 v37, v68, s6, 0
	v_lshlrev_b32_e32 v41, 1, v69
	v_mul_f16_sdwa v82, v48, v14 dst_sel:DWORD dst_unused:UNUSED_PAD src0_sel:DWORD src1_sel:WORD_1
	v_add3_u32 v41, v37, v41, v0
	v_mad_u32_u24 v37, v71, s6, 0
	v_lshlrev_b32_e32 v43, 1, v72
	v_fma_f16 v82, v29, v14, v82
	v_add3_u32 v43, v37, v43, v0
	v_mad_u32_u24 v37, v74, s6, 0
	v_lshlrev_b32_e32 v61, 1, v75
	v_sub_f16_e32 v82, v42, v82
	v_add3_u32 v61, v37, v61, v0
	v_mad_u32_u24 v37, v77, s6, 0
	v_lshlrev_b32_e32 v62, 1, v78
	v_fma_f16 v42, v42, 2.0, -v82
	v_add3_u32 v62, v37, v62, v0
	ds_write_b16 v40, v83
	ds_write_b16 v40, v76 offset:68
	ds_write_b16 v41, v84
	ds_write_b16 v41, v79 offset:68
	;; [unrolled: 2-line block ×5, first 2 shown]
	v_lshlrev_b32_e32 v42, 1, v64
	s_and_saveexec_b64 s[2:3], s[0:1]
	s_cbranch_execz .LBB0_32
; %bb.31:
	v_mul_f16_sdwa v37, v55, v7 dst_sel:DWORD dst_unused:UNUSED_PAD src0_sel:DWORD src1_sel:WORD_1
	v_fma_f16 v37, v56, v7, v37
	v_sub_f16_e32 v37, v26, v37
	v_fma_f16 v26, v26, 2.0, -v37
	v_add3_u32 v63, 0, v42, v0
	ds_write_b16 v63, v26 offset:1904
	ds_write_b16 v63, v37 offset:1972
.LBB0_32:
	s_or_b64 exec, exec, s[2:3]
	v_mul_f16_sdwa v34, v34, v60 dst_sel:DWORD dst_unused:UNUSED_PAD src0_sel:DWORD src1_sel:WORD_1
	v_mul_f16_sdwa v33, v33, v58 dst_sel:DWORD dst_unused:UNUSED_PAD src0_sel:DWORD src1_sel:WORD_1
	;; [unrolled: 1-line block ×4, first 2 shown]
	v_fma_f16 v34, v53, v60, -v34
	v_fma_f16 v33, v52, v58, -v33
	;; [unrolled: 1-line block ×3, first 2 shown]
	v_mul_f16_sdwa v31, v31, v16 dst_sel:DWORD dst_unused:UNUSED_PAD src0_sel:DWORD src1_sel:WORD_1
	v_mul_f16_sdwa v30, v30, v15 dst_sel:DWORD dst_unused:UNUSED_PAD src0_sel:DWORD src1_sel:WORD_1
	;; [unrolled: 1-line block ×3, first 2 shown]
	v_fma_f16 v26, v54, v59, -v26
	v_fma_f16 v16, v50, v16, -v31
	;; [unrolled: 1-line block ×4, first 2 shown]
	v_sub_f16_e32 v49, v25, v34
	v_sub_f16_e32 v51, v27, v33
	;; [unrolled: 1-line block ×4, first 2 shown]
	v_fma_f16 v50, v25, 2.0, -v49
	v_fma_f16 v52, v27, 2.0, -v51
	;; [unrolled: 1-line block ×3, first 2 shown]
	v_sub_f16_e32 v57, v44, v16
	v_sub_f16_e32 v58, v45, v15
	v_sub_f16_e32 v59, v46, v14
	s_waitcnt lgkmcnt(0)
	s_barrier
	ds_read_u16 v33, v24
	ds_read_u16 v16, v20
	;; [unrolled: 1-line block ×4, first 2 shown]
	ds_read_u16 v30, v19 offset:952
	ds_read_u16 v27, v19 offset:1088
	ds_read_u16 v34, v19 offset:1496
	ds_read_u16 v32, v19 offset:1632
	ds_read_u16 v28, v19 offset:1768
	ds_read_u16 v35, v23
	ds_read_u16 v14, v22
	ds_read_u16 v37, v19 offset:1360
	ds_read_u16 v31, v19 offset:1224
	ds_read_u16 v25, v18
	ds_read_u16 v29, v19 offset:1904
	v_fma_f16 v47, v47, 2.0, -v48
	v_fma_f16 v44, v44, 2.0, -v57
	;; [unrolled: 1-line block ×4, first 2 shown]
	s_waitcnt lgkmcnt(0)
	s_barrier
	ds_write_b16 v38, v47
	ds_write_b16 v38, v48 offset:68
	ds_write_b16 v39, v50
	ds_write_b16 v39, v49 offset:68
	;; [unrolled: 2-line block ×7, first 2 shown]
	s_and_saveexec_b64 s[2:3], s[0:1]
	s_cbranch_execz .LBB0_34
; %bb.33:
	v_mul_f16_sdwa v38, v56, v7 dst_sel:DWORD dst_unused:UNUSED_PAD src0_sel:DWORD src1_sel:WORD_1
	v_fma_f16 v7, v55, v7, -v38
	v_sub_f16_e32 v7, v36, v7
	v_fma_f16 v36, v36, 2.0, -v7
	v_add3_u32 v38, 0, v42, v0
	ds_write_b16 v38, v36 offset:1904
	ds_write_b16 v38, v7 offset:1972
.LBB0_34:
	s_or_b64 exec, exec, s[2:3]
	v_mov_b32_e32 v7, 0
	v_lshlrev_b64 v[38:39], 2, v[6:7]
	v_mov_b32_e32 v6, s13
	v_add_co_u32_e64 v38, s[0:1], s12, v38
	v_addc_co_u32_e64 v39, s[0:1], v6, v39, s[0:1]
	s_movk_i32 s0, 0x79
	v_mul_lo_u16_sdwa v6, v10, s0 dst_sel:DWORD dst_unused:UNUSED_PAD src0_sel:BYTE_0 src1_sel:DWORD
	s_mov_b32 s0, 0xf0f1
	v_lshrrev_b16_e32 v6, 13, v6
	v_mul_u32_u24_sdwa v36, v12, s0 dst_sel:DWORD dst_unused:UNUSED_PAD src0_sel:WORD_0 src1_sel:DWORD
	v_mul_lo_u16_e32 v6, 0x44, v6
	v_lshrrev_b32_e32 v36, 22, v36
	v_sub_u16_e32 v6, v10, v6
	v_mov_b32_e32 v10, 3
	v_mul_lo_u16_e32 v36, 0x44, v36
	v_lshlrev_b32_sdwa v10, v10, v6 dst_sel:DWORD dst_unused:UNUSED_PAD src0_sel:DWORD src1_sel:BYTE_0
	v_sub_u16_e32 v36, v12, v36
	v_mul_u32_u24_sdwa v12, v13, s0 dst_sel:DWORD dst_unused:UNUSED_PAD src0_sel:WORD_0 src1_sel:DWORD
	s_waitcnt lgkmcnt(0)
	s_barrier
	global_load_dwordx2 v[38:39], v[38:39], off offset:264
	v_lshrrev_b32_e32 v12, 22, v12
	global_load_dwordx2 v[40:41], v10, s[12:13] offset:264
	v_lshlrev_b32_e32 v10, 3, v36
	global_load_dwordx2 v[42:43], v10, s[12:13] offset:264
	v_mul_lo_u16_e32 v10, 0x44, v12
	v_sub_u16_e32 v10, v13, v10
	v_lshlrev_b32_e32 v12, 3, v10
	global_load_dwordx2 v[12:13], v12, s[12:13] offset:264
	ds_read_u16 v44, v24
	ds_read_u16 v45, v20
	;; [unrolled: 1-line block ×4, first 2 shown]
	ds_read_u16 v48, v19 offset:952
	ds_read_u16 v49, v19 offset:1088
	;; [unrolled: 1-line block ×5, first 2 shown]
	ds_read_u16 v53, v23
	ds_read_u16 v54, v22
	ds_read_u16 v55, v19 offset:1360
	ds_read_u16 v56, v19 offset:1224
	ds_read_u16 v57, v18
	ds_read_u16 v58, v19 offset:1904
	v_mov_b32_e32 v59, 1
	v_lshlrev_b32_sdwa v6, v59, v6 dst_sel:DWORD dst_unused:UNUSED_PAD src0_sel:DWORD src1_sel:BYTE_0
	s_mov_b32 s0, 0xbaee
	s_movk_i32 s1, 0x3aee
	v_lshlrev_b32_e32 v36, 1, v36
	v_lshlrev_b32_e32 v10, 1, v10
	s_waitcnt vmcnt(0) lgkmcnt(0)
	s_barrier
	v_add3_u32 v36, 0, v36, v0
	v_add3_u32 v10, 0, v10, v0
	v_mul_f16_sdwa v59, v53, v38 dst_sel:DWORD dst_unused:UNUSED_PAD src0_sel:DWORD src1_sel:WORD_1
	v_mul_f16_sdwa v60, v35, v38 dst_sel:DWORD dst_unused:UNUSED_PAD src0_sel:DWORD src1_sel:WORD_1
	;; [unrolled: 1-line block ×8, first 2 shown]
	v_fma_f16 v35, v35, v38, v59
	v_fma_f16 v53, v53, v38, -v60
	v_fma_f16 v37, v37, v39, v61
	v_fma_f16 v55, v55, v39, -v62
	;; [unrolled: 2-line block ×4, first 2 shown]
	v_mul_f16_sdwa v44, v48, v40 dst_sel:DWORD dst_unused:UNUSED_PAD src0_sel:DWORD src1_sel:WORD_1
	v_mul_f16_sdwa v50, v30, v40 dst_sel:DWORD dst_unused:UNUSED_PAD src0_sel:DWORD src1_sel:WORD_1
	;; [unrolled: 1-line block ×3, first 2 shown]
	v_fma_f16 v30, v30, v40, v44
	v_fma_f16 v40, v48, v40, -v50
	v_fma_f16 v44, v29, v13, v67
	v_mul_f16_sdwa v29, v29, v13 dst_sel:DWORD dst_unused:UNUSED_PAD src0_sel:DWORD src1_sel:WORD_1
	v_add_f16_e32 v48, v35, v37
	v_mul_f16_sdwa v61, v49, v42 dst_sel:DWORD dst_unused:UNUSED_PAD src0_sel:DWORD src1_sel:WORD_1
	v_mul_f16_sdwa v62, v27, v42 dst_sel:DWORD dst_unused:UNUSED_PAD src0_sel:DWORD src1_sel:WORD_1
	v_fma_f16 v13, v58, v13, -v29
	v_add_f16_e32 v29, v26, v35
	v_fma_f16 v26, v48, -0.5, v26
	v_sub_f16_e32 v48, v53, v55
	v_add_f16_e32 v50, v53, v55
	v_fma_f16 v27, v27, v42, v61
	v_fma_f16 v42, v49, v42, -v62
	v_fma_f16 v49, v48, s0, v26
	v_fma_f16 v26, v48, s1, v26
	v_add_f16_e32 v48, v47, v53
	v_fma_f16 v47, v50, -0.5, v47
	v_sub_f16_e32 v35, v35, v37
	v_add_f16_e32 v50, v33, v34
	v_mul_f16_sdwa v59, v51, v41 dst_sel:DWORD dst_unused:UNUSED_PAD src0_sel:DWORD src1_sel:WORD_1
	v_mul_f16_sdwa v60, v32, v41 dst_sel:DWORD dst_unused:UNUSED_PAD src0_sel:DWORD src1_sel:WORD_1
	v_add_f16_e32 v29, v29, v37
	v_fma_f16 v37, v35, s1, v47
	v_fma_f16 v35, v35, s0, v47
	v_add_f16_e32 v47, v25, v33
	v_fma_f16 v25, v50, -0.5, v25
	v_sub_f16_e32 v50, v38, v39
	v_fma_f16 v32, v32, v41, v59
	v_fma_f16 v41, v51, v41, -v60
	v_fma_f16 v51, v50, s0, v25
	v_fma_f16 v25, v50, s1, v25
	v_add_f16_e32 v50, v57, v38
	v_add_f16_e32 v38, v38, v39
	;; [unrolled: 1-line block ×3, first 2 shown]
	v_fma_f16 v38, v38, -0.5, v57
	v_sub_f16_e32 v33, v33, v34
	v_add_f16_e32 v39, v30, v32
	v_mul_f16_sdwa v63, v52, v43 dst_sel:DWORD dst_unused:UNUSED_PAD src0_sel:DWORD src1_sel:WORD_1
	v_mul_f16_sdwa v64, v28, v43 dst_sel:DWORD dst_unused:UNUSED_PAD src0_sel:DWORD src1_sel:WORD_1
	v_add_f16_e32 v47, v47, v34
	v_fma_f16 v34, v33, s1, v38
	v_fma_f16 v33, v33, s0, v38
	v_add_f16_e32 v38, v16, v30
	v_fma_f16 v16, v39, -0.5, v16
	v_sub_f16_e32 v39, v40, v41
	v_fma_f16 v28, v28, v43, v63
	v_fma_f16 v43, v52, v43, -v64
	v_fma_f16 v52, v39, s0, v16
	v_fma_f16 v16, v39, s1, v16
	v_add_f16_e32 v39, v45, v40
	v_add_f16_e32 v40, v40, v41
	;; [unrolled: 1-line block ×3, first 2 shown]
	v_fma_f16 v40, v40, -0.5, v45
	v_sub_f16_e32 v30, v30, v32
	v_add_f16_e32 v32, v27, v28
	v_add_f16_e32 v39, v39, v41
	v_fma_f16 v41, v30, s1, v40
	v_fma_f16 v40, v30, s0, v40
	v_add_f16_e32 v30, v15, v27
	v_fma_f16 v15, v32, -0.5, v15
	v_sub_f16_e32 v32, v42, v43
	v_mul_f16_sdwa v65, v56, v12 dst_sel:DWORD dst_unused:UNUSED_PAD src0_sel:DWORD src1_sel:WORD_1
	v_fma_f16 v45, v32, s0, v15
	v_fma_f16 v15, v32, s1, v15
	v_add_f16_e32 v32, v46, v42
	v_mul_f16_sdwa v66, v31, v12 dst_sel:DWORD dst_unused:UNUSED_PAD src0_sel:DWORD src1_sel:WORD_1
	v_fma_f16 v31, v31, v12, v65
	v_add_f16_e32 v53, v32, v43
	v_add_f16_e32 v32, v42, v43
	v_fma_f16 v12, v56, v12, -v66
	v_add_f16_e32 v30, v30, v28
	v_fma_f16 v32, v32, -0.5, v46
	v_sub_f16_e32 v27, v27, v28
	v_add_f16_e32 v28, v31, v44
	v_fma_f16 v42, v27, s1, v32
	v_fma_f16 v43, v27, s0, v32
	v_add_f16_e32 v27, v14, v31
	v_fma_f16 v14, v28, -0.5, v14
	v_sub_f16_e32 v28, v12, v13
	v_fma_f16 v32, v28, s0, v14
	v_fma_f16 v14, v28, s1, v14
	v_add_f16_e32 v28, v54, v12
	v_add_f16_e32 v12, v12, v13
	;; [unrolled: 1-line block ×4, first 2 shown]
	v_fma_f16 v12, v12, -0.5, v54
	v_sub_f16_e32 v13, v31, v44
	ds_write_b16 v19, v29
	ds_write_b16 v19, v49 offset:136
	ds_write_b16 v19, v26 offset:272
	;; [unrolled: 1-line block ×5, first 2 shown]
	v_add3_u32 v47, 0, v6, v0
	v_fma_f16 v44, v13, s1, v12
	v_fma_f16 v54, v13, s0, v12
	ds_write_b16 v47, v38 offset:816
	ds_write_b16 v47, v52 offset:952
	;; [unrolled: 1-line block ×9, first 2 shown]
	s_waitcnt lgkmcnt(0)
	s_barrier
	ds_read_u16 v27, v22
	ds_read_u16 v0, v17
	ds_read_u16 v26, v19 offset:952
	ds_read_u16 v25, v19 offset:1360
	;; [unrolled: 1-line block ×3, first 2 shown]
	ds_read_u16 v12, v24
	ds_read_u16 v6, v23
	;; [unrolled: 1-line block ×4, first 2 shown]
	ds_read_u16 v15, v19 offset:1632
	ds_read_u16 v30, v19 offset:1496
	;; [unrolled: 1-line block ×4, first 2 shown]
	ds_read_u16 v16, v18
	ds_read_u16 v32, v19 offset:1904
	v_add_f16_e32 v48, v48, v55
	s_waitcnt lgkmcnt(0)
	s_barrier
	ds_write_b16 v19, v48
	ds_write_b16 v19, v37 offset:136
	ds_write_b16 v19, v35 offset:272
	;; [unrolled: 1-line block ×14, first 2 shown]
	s_waitcnt lgkmcnt(0)
	s_barrier
	s_and_saveexec_b64 s[0:1], vcc
	s_cbranch_execz .LBB0_36
; %bb.35:
	v_mov_b32_e32 v10, v7
	v_lshlrev_b64 v[9:10], 2, v[9:10]
	v_mov_b32_e32 v39, s13
	v_add_co_u32_e32 v9, vcc, s12, v9
	v_addc_co_u32_e32 v10, vcc, v39, v10, vcc
	global_load_dwordx4 v[33:36], v[9:10], off offset:808
	v_mov_b32_e32 v9, v7
	v_mul_lo_u32 v10, s5, v3
	v_mul_lo_u32 v40, s4, v4
	v_mad_u64_u32 v[37:38], s[0:1], s4, v3, 0
	ds_read_u16 v41, v19 offset:1904
	v_lshlrev_b64 v[3:4], 2, v[8:9]
	ds_read_u16 v42, v19 offset:1768
	ds_read_u16 v43, v19 offset:1632
	;; [unrolled: 1-line block ×7, first 2 shown]
	ds_read_u16 v24, v24
	ds_read_u16 v23, v23
	;; [unrolled: 1-line block ×6, first 2 shown]
	v_add_co_u32_e32 v3, vcc, s12, v3
	v_addc_co_u32_e32 v4, vcc, v39, v4, vcc
	global_load_dwordx4 v[18:21], v[3:4], off offset:808
	v_add3_u32 v38, v38, v40, v10
	s_mov_b32 s0, 0xbb9c
	s_movk_i32 s3, 0x3b9c
	s_mov_b32 s2, 0xb8b4
	s_movk_i32 s4, 0x38b4
	s_movk_i32 s1, 0x34f2
	ds_read_u16 v17, v17
	s_waitcnt vmcnt(1)
	v_mul_f16_sdwa v3, v6, v33 dst_sel:DWORD dst_unused:UNUSED_PAD src0_sel:DWORD src1_sel:WORD_1
	v_mul_f16_sdwa v4, v31, v34 dst_sel:DWORD dst_unused:UNUSED_PAD src0_sel:DWORD src1_sel:WORD_1
	;; [unrolled: 1-line block ×4, first 2 shown]
	s_waitcnt lgkmcnt(5)
	v_mul_f16_sdwa v10, v23, v33 dst_sel:DWORD dst_unused:UNUSED_PAD src0_sel:DWORD src1_sel:WORD_1
	v_mul_f16_sdwa v40, v41, v36 dst_sel:DWORD dst_unused:UNUSED_PAD src0_sel:DWORD src1_sel:WORD_1
	;; [unrolled: 1-line block ×4, first 2 shown]
	v_fma_f16 v3, v23, v33, -v3
	v_fma_f16 v4, v47, v34, -v4
	;; [unrolled: 1-line block ×4, first 2 shown]
	v_fma_f16 v10, v6, v33, v10
	v_fma_f16 v23, v32, v36, v40
	;; [unrolled: 1-line block ×4, first 2 shown]
	v_sub_f16_e32 v6, v3, v4
	v_sub_f16_e32 v32, v8, v9
	v_add_f16_e32 v33, v4, v9
	v_sub_f16_e32 v34, v10, v23
	v_sub_f16_e32 v36, v10, v31
	;; [unrolled: 1-line block ×3, first 2 shown]
	v_add_f16_e32 v41, v31, v30
	v_add_f16_e32 v54, v3, v8
	;; [unrolled: 1-line block ×3, first 2 shown]
	s_waitcnt lgkmcnt(2)
	v_fma_f16 v32, v33, -0.5, v50
	v_sub_f16_e32 v35, v31, v30
	v_add_f16_e32 v33, v36, v40
	v_fma_f16 v36, v41, -0.5, v29
	v_fma_f16 v41, v54, -0.5, v50
	v_fma_f16 v54, v34, s0, v32
	v_fma_f16 v32, v34, s3, v32
	v_sub_f16_e32 v44, v3, v8
	v_sub_f16_e32 v52, v4, v3
	;; [unrolled: 1-line block ×5, first 2 shown]
	v_fma_f16 v54, v35, s2, v54
	v_fma_f16 v32, v35, s4, v32
	v_sub_f16_e32 v47, v4, v9
	v_add_f16_e32 v40, v52, v53
	v_add_f16_e32 v52, v55, v56
	v_fma_f16 v55, v44, s3, v36
	v_fma_f16 v54, v6, s1, v54
	;; [unrolled: 1-line block ×10, first 2 shown]
	v_add_f16_e32 v3, v3, v50
	v_mov_b32_e32 v6, v7
	v_fma_f16 v56, v34, s2, v56
	v_fma_f16 v41, v34, s4, v41
	v_add_f16_e32 v34, v4, v3
	v_lshlrev_b64 v[3:4], 2, v[5:6]
	v_add_f16_e32 v7, v9, v34
	v_add_co_u32_e32 v3, vcc, s12, v3
	v_addc_co_u32_e32 v4, vcc, v39, v4, vcc
	global_load_dwordx4 v[3:6], v[3:4], off offset:808
	v_add_f16_e32 v8, v8, v7
	v_add_f16_e32 v7, v29, v10
	;; [unrolled: 1-line block ×6, first 2 shown]
	s_waitcnt vmcnt(1)
	v_mul_f16_sdwa v7, v27, v18 dst_sel:DWORD dst_unused:UNUSED_PAD src0_sel:DWORD src1_sel:WORD_1
	v_fma_f16 v53, v57, -0.5, v29
	v_fma_f16 v7, v22, v18, -v7
	v_mul_f16_sdwa v10, v26, v19 dst_sel:DWORD dst_unused:UNUSED_PAD src0_sel:DWORD src1_sel:WORD_1
	v_mul_f16_sdwa v29, v28, v21 dst_sel:DWORD dst_unused:UNUSED_PAD src0_sel:DWORD src1_sel:WORD_1
	;; [unrolled: 1-line block ×4, first 2 shown]
	v_fma_f16 v10, v48, v19, -v10
	v_fma_f16 v29, v42, v21, -v29
	;; [unrolled: 1-line block ×3, first 2 shown]
	v_fma_f16 v18, v27, v18, v22
	v_mul_f16_sdwa v22, v42, v21 dst_sel:DWORD dst_unused:UNUSED_PAD src0_sel:DWORD src1_sel:WORD_1
	v_sub_f16_e32 v23, v7, v10
	v_sub_f16_e32 v31, v29, v30
	v_fma_f16 v21, v28, v21, v22
	v_mul_f16_sdwa v28, v48, v19 dst_sel:DWORD dst_unused:UNUSED_PAD src0_sel:DWORD src1_sel:WORD_1
	v_add_f16_e32 v23, v23, v31
	v_add_f16_e32 v31, v10, v30
	v_fma_f16 v19, v26, v19, v28
	v_mul_f16_sdwa v26, v45, v20 dst_sel:DWORD dst_unused:UNUSED_PAD src0_sel:DWORD src1_sel:WORD_1
	v_sub_f16_e32 v39, v10, v7
	v_sub_f16_e32 v42, v30, v29
	s_waitcnt lgkmcnt(1)
	v_fma_f16 v31, v31, -0.5, v51
	v_sub_f16_e32 v22, v18, v21
	v_fma_f16 v20, v25, v20, v26
	v_sub_f16_e32 v34, v7, v29
	v_add_f16_e32 v39, v39, v42
	v_add_f16_e32 v42, v7, v29
	;; [unrolled: 1-line block ×3, first 2 shown]
	v_fma_f16 v57, v47, s0, v53
	v_fma_f16 v56, v40, s1, v56
	;; [unrolled: 1-line block ×5, first 2 shown]
	v_sub_f16_e32 v25, v19, v20
	v_fma_f16 v42, v42, -0.5, v51
	v_add_f16_e32 v7, v10, v7
	v_fma_f16 v57, v44, s4, v57
	v_fma_f16 v41, v44, s2, v41
	;; [unrolled: 1-line block ×3, first 2 shown]
	v_sub_f16_e32 v27, v18, v19
	v_sub_f16_e32 v28, v21, v20
	v_fma_f16 v44, v25, s3, v42
	v_fma_f16 v42, v25, s0, v42
	v_add_f16_e32 v7, v30, v7
	v_add_f16_e32 v27, v27, v28
	;; [unrolled: 1-line block ×3, first 2 shown]
	v_sub_f16_e32 v36, v10, v30
	v_fma_f16 v44, v22, s2, v44
	v_fma_f16 v42, v22, s4, v42
	;; [unrolled: 1-line block ×3, first 2 shown]
	v_add_f16_e32 v10, v29, v7
	v_add_f16_e32 v7, v16, v18
	v_fma_f16 v28, v28, -0.5, v16
	v_sub_f16_e32 v45, v19, v18
	v_sub_f16_e32 v47, v20, v21
	v_fma_f16 v22, v25, s4, v22
	v_add_f16_e32 v7, v7, v19
	v_fma_f16 v26, v23, s1, v26
	v_fma_f16 v35, v34, s3, v28
	v_add_f16_e32 v45, v45, v47
	v_add_f16_e32 v47, v18, v21
	v_fma_f16 v22, v23, s1, v22
	v_fma_f16 v23, v34, s0, v28
	v_add_f16_e32 v7, v7, v20
	v_fma_f16 v35, v36, s4, v35
	v_fma_f16 v47, v47, -0.5, v16
	v_fma_f16 v23, v36, s2, v23
	v_add_f16_e32 v16, v21, v7
	v_fma_f16 v35, v27, s1, v35
	v_fma_f16 v23, v27, s1, v23
	;; [unrolled: 1-line block ×4, first 2 shown]
	s_waitcnt vmcnt(0)
	v_mul_f16_sdwa v7, v14, v3 dst_sel:DWORD dst_unused:UNUSED_PAD src0_sel:DWORD src1_sel:WORD_1
	v_mul_f16_sdwa v18, v12, v4 dst_sel:DWORD dst_unused:UNUSED_PAD src0_sel:DWORD src1_sel:WORD_1
	;; [unrolled: 1-line block ×4, first 2 shown]
	v_fma_f16 v7, v49, v3, -v7
	v_fma_f16 v18, v24, v4, -v18
	;; [unrolled: 1-line block ×4, first 2 shown]
	v_mul_f16_sdwa v27, v49, v3 dst_sel:DWORD dst_unused:UNUSED_PAD src0_sel:DWORD src1_sel:WORD_1
	v_sub_f16_e32 v19, v7, v18
	v_sub_f16_e32 v25, v20, v21
	v_fma_f16 v14, v14, v3, v27
	v_mul_f16_sdwa v3, v43, v6 dst_sel:DWORD dst_unused:UNUSED_PAD src0_sel:DWORD src1_sel:WORD_1
	v_mul_f16_sdwa v24, v24, v4 dst_sel:DWORD dst_unused:UNUSED_PAD src0_sel:DWORD src1_sel:WORD_1
	v_add_f16_e32 v19, v19, v25
	v_add_f16_e32 v25, v18, v21
	v_fma_f16 v6, v15, v6, v3
	v_fma_f16 v12, v12, v4, v24
	v_mul_f16_sdwa v4, v46, v5 dst_sel:DWORD dst_unused:UNUSED_PAD src0_sel:DWORD src1_sel:WORD_1
	s_waitcnt lgkmcnt(0)
	v_fma_f16 v25, v25, -0.5, v17
	v_sub_f16_e32 v3, v14, v6
	v_fma_f16 v13, v13, v5, v4
	v_fma_f16 v15, v3, s0, v25
	v_sub_f16_e32 v4, v12, v13
	v_sub_f16_e32 v30, v18, v7
	;; [unrolled: 1-line block ×3, first 2 shown]
	v_fma_f16 v5, v4, s2, v15
	v_add_f16_e32 v30, v30, v31
	v_add_f16_e32 v31, v7, v20
	v_fma_f16 v39, v39, s1, v42
	v_fma_f16 v42, v36, s3, v47
	;; [unrolled: 1-line block ×3, first 2 shown]
	v_sub_f16_e32 v5, v14, v12
	v_sub_f16_e32 v24, v6, v13
	v_fma_f16 v31, v31, -0.5, v17
	v_sub_f16_e32 v36, v12, v14
	v_sub_f16_e32 v43, v13, v6
	v_fma_f16 v48, v34, s4, v48
	v_fma_f16 v42, v34, s2, v42
	v_add_f16_e32 v5, v5, v24
	v_add_f16_e32 v24, v12, v13
	v_fma_f16 v34, v4, s3, v31
	v_add_f16_e32 v36, v36, v43
	v_add_f16_e32 v43, v14, v6
	v_fma_f16 v31, v4, s0, v31
	v_fma_f16 v24, v24, -0.5, v0
	v_sub_f16_e32 v27, v7, v20
	v_sub_f16_e32 v29, v18, v21
	v_fma_f16 v34, v3, s2, v34
	v_fma_f16 v43, v43, -0.5, v0
	v_fma_f16 v31, v3, s4, v31
	v_fma_f16 v28, v27, s3, v24
	;; [unrolled: 1-line block ×6, first 2 shown]
	s_mov_b32 s3, 0xa0a0a0a1
	v_fma_f16 v3, v4, s4, v3
	v_mul_hi_u32 v4, v11, s3
	v_fma_f16 v48, v45, s1, v48
	v_fma_f16 v42, v45, s1, v42
	;; [unrolled: 1-line block ×5, first 2 shown]
	v_lshrrev_b32_e32 v4, 7, v4
	s_movk_i32 s0, 0xcc
	v_mul_lo_u32 v4, v4, s0
	v_fma_f16 v3, v29, s2, v3
	v_fma_f16 v28, v29, s4, v28
	;; [unrolled: 1-line block ×3, first 2 shown]
	v_add_f16_e32 v3, v7, v17
	v_sub_u32_e32 v7, v11, v4
	v_fma_f16 v28, v5, s1, v28
	v_fma_f16 v45, v27, s4, v45
	v_add_f16_e32 v5, v18, v3
	v_mad_u64_u32 v[3:4], s[4:5], s20, v7, 0
	v_add_f16_e32 v5, v21, v5
	v_add_f16_e32 v14, v0, v14
	v_mov_b32_e32 v0, v4
	v_add_f16_e32 v17, v20, v5
	v_mad_u64_u32 v[4:5], s[4:5], s21, v7, v[0:1]
	v_add_f16_e32 v0, v14, v12
	v_add_f16_e32 v0, v0, v13
	v_add_f16_e32 v12, v6, v0
	v_lshlrev_b64 v[5:6], 2, v[37:38]
	v_mov_b32_e32 v0, s11
	v_add_co_u32_e32 v13, vcc, s10, v5
	v_add_u32_e32 v18, 0xcc, v7
	v_addc_co_u32_e32 v14, vcc, v0, v6, vcc
	v_mad_u64_u32 v[5:6], s[4:5], s20, v18, 0
	v_lshlrev_b64 v[0:1], 2, v[1:2]
	v_fma_f16 v31, v27, s2, v31
	v_add_co_u32_e32 v13, vcc, v13, v0
	v_mov_b32_e32 v2, v6
	v_addc_co_u32_e32 v14, vcc, v14, v1, vcc
	v_lshlrev_b64 v[0:1], 2, v[3:4]
	v_mad_u64_u32 v[2:3], s[4:5], s21, v18, v[2:3]
	v_add_co_u32_e32 v0, vcc, v13, v0
	v_addc_co_u32_e32 v1, vcc, v14, v1, vcc
	v_pack_b32_f16 v3, v12, v17
	v_add_u32_e32 v4, 0x198, v7
	global_store_dword v[0:1], v3, off
	v_mov_b32_e32 v6, v2
	v_mad_u64_u32 v[2:3], s[4:5], s20, v4, 0
	v_add_u32_e32 v12, 0x264, v7
	v_lshlrev_b64 v[0:1], 2, v[5:6]
	v_mad_u64_u32 v[3:4], s[4:5], s21, v4, v[3:4]
	v_mad_u64_u32 v[4:5], s[4:5], s20, v12, 0
	v_add_co_u32_e32 v0, vcc, v13, v0
	v_addc_co_u32_e32 v1, vcc, v14, v1, vcc
	v_pack_b32_f16 v6, v24, v19
	global_store_dword v[0:1], v6, off
	v_lshlrev_b64 v[0:1], 2, v[2:3]
	v_mov_b32_e32 v2, v5
	v_mad_u64_u32 v[2:3], s[4:5], s21, v12, v[2:3]
	v_fma_f16 v31, v36, s1, v31
	v_add_co_u32_e32 v0, vcc, v13, v0
	v_addc_co_u32_e32 v1, vcc, v14, v1, vcc
	v_pack_b32_f16 v3, v31, v30
	v_mov_b32_e32 v5, v2
	v_add_u32_e32 v6, 0x44, v11
	global_store_dword v[0:1], v3, off
	v_lshlrev_b64 v[0:1], 2, v[4:5]
	v_add_u32_e32 v5, 0x330, v7
	v_mul_hi_u32 v7, v6, s3
	v_fma_f16 v45, v36, s1, v45
	v_add_co_u32_e32 v0, vcc, v13, v0
	v_addc_co_u32_e32 v1, vcc, v14, v1, vcc
	v_pack_b32_f16 v4, v45, v34
	v_mad_u64_u32 v[2:3], s[4:5], s20, v5, 0
	global_store_dword v[0:1], v4, off
	v_lshrrev_b32_e32 v4, 7, v7
	v_mul_lo_u32 v7, v4, s0
	v_mov_b32_e32 v0, v3
	v_mad_u64_u32 v[0:1], s[4:5], s21, v5, v[0:1]
	v_fma_f16 v57, v52, s1, v57
	v_fma_f16 v41, v52, s1, v41
	v_sub_u32_e32 v1, v6, v7
	s_movk_i32 s1, 0x3fc
	v_mad_u64_u32 v[4:5], s[4:5], v4, s1, v[1:2]
	v_mov_b32_e32 v3, v0
	v_lshlrev_b64 v[0:1], 2, v[2:3]
	v_mad_u64_u32 v[2:3], s[4:5], s20, v4, 0
	v_pack_b32_f16 v12, v28, v15
	v_add_u32_e32 v15, 0xcc, v4
	v_mad_u64_u32 v[5:6], s[4:5], s21, v4, v[3:4]
	v_mad_u64_u32 v[6:7], s[4:5], s20, v15, 0
	v_add_co_u32_e32 v0, vcc, v13, v0
	v_addc_co_u32_e32 v1, vcc, v14, v1, vcc
	v_mov_b32_e32 v3, v5
	global_store_dword v[0:1], v12, off
	v_lshlrev_b64 v[0:1], 2, v[2:3]
	v_mov_b32_e32 v2, v7
	v_mad_u64_u32 v[2:3], s[4:5], s21, v15, v[2:3]
	v_add_co_u32_e32 v0, vcc, v13, v0
	v_addc_co_u32_e32 v1, vcc, v14, v1, vcc
	v_pack_b32_f16 v3, v16, v10
	v_add_u32_e32 v5, 0x198, v4
	global_store_dword v[0:1], v3, off
	v_mov_b32_e32 v7, v2
	v_mad_u64_u32 v[2:3], s[4:5], s20, v5, 0
	v_lshlrev_b64 v[0:1], 2, v[6:7]
	v_add_u32_e32 v12, 0x264, v4
	v_mad_u64_u32 v[5:6], s[4:5], s21, v5, v[3:4]
	v_mad_u64_u32 v[6:7], s[4:5], s20, v12, 0
	v_add_co_u32_e32 v0, vcc, v13, v0
	v_addc_co_u32_e32 v1, vcc, v14, v1, vcc
	v_pack_b32_f16 v10, v23, v22
	v_mov_b32_e32 v3, v5
	global_store_dword v[0:1], v10, off
	v_lshlrev_b64 v[0:1], 2, v[2:3]
	v_mov_b32_e32 v2, v7
	v_mad_u64_u32 v[2:3], s[4:5], s21, v12, v[2:3]
	v_add_co_u32_e32 v0, vcc, v13, v0
	v_addc_co_u32_e32 v1, vcc, v14, v1, vcc
	v_pack_b32_f16 v3, v42, v39
	v_mov_b32_e32 v7, v2
	v_add_u32_e32 v5, 0x88, v11
	global_store_dword v[0:1], v3, off
	v_lshlrev_b64 v[0:1], 2, v[6:7]
	v_mul_hi_u32 v6, v5, s3
	v_add_u32_e32 v7, 0x330, v4
	v_mad_u64_u32 v[2:3], s[2:3], s20, v7, 0
	v_lshrrev_b32_e32 v6, 7, v6
	v_mul_lo_u32 v4, v6, s0
	v_add_co_u32_e32 v0, vcc, v13, v0
	v_addc_co_u32_e32 v1, vcc, v14, v1, vcc
	v_sub_u32_e32 v4, v5, v4
	v_mad_u64_u32 v[4:5], s[0:1], v6, s1, v[4:5]
	v_pack_b32_f16 v10, v48, v44
	global_store_dword v[0:1], v10, off
	v_mad_u64_u32 v[5:6], s[0:1], s21, v7, v[3:4]
	v_mad_u64_u32 v[6:7], s[0:1], s20, v4, 0
	v_mov_b32_e32 v3, v5
	v_lshlrev_b64 v[0:1], 2, v[2:3]
	v_mov_b32_e32 v2, v7
	v_mad_u64_u32 v[2:3], s[0:1], s21, v4, v[2:3]
	v_add_co_u32_e32 v0, vcc, v13, v0
	v_addc_co_u32_e32 v1, vcc, v14, v1, vcc
	v_pack_b32_f16 v3, v35, v26
	v_add_u32_e32 v5, 0xcc, v4
	global_store_dword v[0:1], v3, off
	v_mov_b32_e32 v7, v2
	v_mad_u64_u32 v[2:3], s[0:1], s20, v5, 0
	v_lshlrev_b64 v[0:1], 2, v[6:7]
	v_pack_b32_f16 v8, v9, v8
	v_mad_u64_u32 v[5:6], s[0:1], s21, v5, v[3:4]
	v_add_u32_e32 v9, 0x198, v4
	v_mad_u64_u32 v[6:7], s[0:1], s20, v9, 0
	v_add_co_u32_e32 v0, vcc, v13, v0
	v_addc_co_u32_e32 v1, vcc, v14, v1, vcc
	v_mov_b32_e32 v3, v5
	global_store_dword v[0:1], v8, off
	v_lshlrev_b64 v[0:1], 2, v[2:3]
	v_mov_b32_e32 v2, v7
	v_mad_u64_u32 v[2:3], s[0:1], s21, v9, v[2:3]
	v_add_co_u32_e32 v0, vcc, v13, v0
	v_addc_co_u32_e32 v1, vcc, v14, v1, vcc
	v_pack_b32_f16 v3, v33, v32
	v_add_u32_e32 v5, 0x264, v4
	global_store_dword v[0:1], v3, off
	v_mov_b32_e32 v7, v2
	v_mad_u64_u32 v[2:3], s[0:1], s20, v5, 0
	v_lshlrev_b64 v[0:1], 2, v[6:7]
	v_pack_b32_f16 v8, v41, v40
	v_mad_u64_u32 v[5:6], s[0:1], s21, v5, v[3:4]
	v_add_u32_e32 v4, 0x330, v4
	v_mad_u64_u32 v[6:7], s[0:1], s20, v4, 0
	v_add_co_u32_e32 v0, vcc, v13, v0
	v_addc_co_u32_e32 v1, vcc, v14, v1, vcc
	v_mov_b32_e32 v3, v5
	global_store_dword v[0:1], v8, off
	v_lshlrev_b64 v[0:1], 2, v[2:3]
	v_mov_b32_e32 v2, v7
	v_mad_u64_u32 v[2:3], s[0:1], s21, v4, v[2:3]
	v_add_co_u32_e32 v0, vcc, v13, v0
	v_addc_co_u32_e32 v1, vcc, v14, v1, vcc
	v_pack_b32_f16 v3, v57, v56
	v_mov_b32_e32 v7, v2
	global_store_dword v[0:1], v3, off
	v_lshlrev_b64 v[0:1], 2, v[6:7]
	v_pack_b32_f16 v2, v55, v54
	v_add_co_u32_e32 v0, vcc, v13, v0
	v_addc_co_u32_e32 v1, vcc, v14, v1, vcc
	global_store_dword v[0:1], v2, off
.LBB0_36:
	s_endpgm
	.section	.rodata,"a",@progbits
	.p2align	6, 0x0
	.amdhsa_kernel fft_rtc_back_len1020_factors_2_17_2_3_5_wgs_204_tpt_68_halfLds_half_op_CI_CI_sbrr_dirReg
		.amdhsa_group_segment_fixed_size 0
		.amdhsa_private_segment_fixed_size 0
		.amdhsa_kernarg_size 104
		.amdhsa_user_sgpr_count 6
		.amdhsa_user_sgpr_private_segment_buffer 1
		.amdhsa_user_sgpr_dispatch_ptr 0
		.amdhsa_user_sgpr_queue_ptr 0
		.amdhsa_user_sgpr_kernarg_segment_ptr 1
		.amdhsa_user_sgpr_dispatch_id 0
		.amdhsa_user_sgpr_flat_scratch_init 0
		.amdhsa_user_sgpr_private_segment_size 0
		.amdhsa_uses_dynamic_stack 0
		.amdhsa_system_sgpr_private_segment_wavefront_offset 0
		.amdhsa_system_sgpr_workgroup_id_x 1
		.amdhsa_system_sgpr_workgroup_id_y 0
		.amdhsa_system_sgpr_workgroup_id_z 0
		.amdhsa_system_sgpr_workgroup_info 0
		.amdhsa_system_vgpr_workitem_id 0
		.amdhsa_next_free_vgpr 105
		.amdhsa_next_free_sgpr 32
		.amdhsa_reserve_vcc 1
		.amdhsa_reserve_flat_scratch 0
		.amdhsa_float_round_mode_32 0
		.amdhsa_float_round_mode_16_64 0
		.amdhsa_float_denorm_mode_32 3
		.amdhsa_float_denorm_mode_16_64 3
		.amdhsa_dx10_clamp 1
		.amdhsa_ieee_mode 1
		.amdhsa_fp16_overflow 0
		.amdhsa_exception_fp_ieee_invalid_op 0
		.amdhsa_exception_fp_denorm_src 0
		.amdhsa_exception_fp_ieee_div_zero 0
		.amdhsa_exception_fp_ieee_overflow 0
		.amdhsa_exception_fp_ieee_underflow 0
		.amdhsa_exception_fp_ieee_inexact 0
		.amdhsa_exception_int_div_zero 0
	.end_amdhsa_kernel
	.text
.Lfunc_end0:
	.size	fft_rtc_back_len1020_factors_2_17_2_3_5_wgs_204_tpt_68_halfLds_half_op_CI_CI_sbrr_dirReg, .Lfunc_end0-fft_rtc_back_len1020_factors_2_17_2_3_5_wgs_204_tpt_68_halfLds_half_op_CI_CI_sbrr_dirReg
                                        ; -- End function
	.section	.AMDGPU.csdata,"",@progbits
; Kernel info:
; codeLenInByte = 15044
; NumSgprs: 36
; NumVgprs: 105
; ScratchSize: 0
; MemoryBound: 0
; FloatMode: 240
; IeeeMode: 1
; LDSByteSize: 0 bytes/workgroup (compile time only)
; SGPRBlocks: 4
; VGPRBlocks: 26
; NumSGPRsForWavesPerEU: 36
; NumVGPRsForWavesPerEU: 105
; Occupancy: 2
; WaveLimiterHint : 1
; COMPUTE_PGM_RSRC2:SCRATCH_EN: 0
; COMPUTE_PGM_RSRC2:USER_SGPR: 6
; COMPUTE_PGM_RSRC2:TRAP_HANDLER: 0
; COMPUTE_PGM_RSRC2:TGID_X_EN: 1
; COMPUTE_PGM_RSRC2:TGID_Y_EN: 0
; COMPUTE_PGM_RSRC2:TGID_Z_EN: 0
; COMPUTE_PGM_RSRC2:TIDIG_COMP_CNT: 0
	.type	__hip_cuid_fb986a0dbeffb9d8,@object ; @__hip_cuid_fb986a0dbeffb9d8
	.section	.bss,"aw",@nobits
	.globl	__hip_cuid_fb986a0dbeffb9d8
__hip_cuid_fb986a0dbeffb9d8:
	.byte	0                               ; 0x0
	.size	__hip_cuid_fb986a0dbeffb9d8, 1

	.ident	"AMD clang version 19.0.0git (https://github.com/RadeonOpenCompute/llvm-project roc-6.4.0 25133 c7fe45cf4b819c5991fe208aaa96edf142730f1d)"
	.section	".note.GNU-stack","",@progbits
	.addrsig
	.addrsig_sym __hip_cuid_fb986a0dbeffb9d8
	.amdgpu_metadata
---
amdhsa.kernels:
  - .args:
      - .actual_access:  read_only
        .address_space:  global
        .offset:         0
        .size:           8
        .value_kind:     global_buffer
      - .offset:         8
        .size:           8
        .value_kind:     by_value
      - .actual_access:  read_only
        .address_space:  global
        .offset:         16
        .size:           8
        .value_kind:     global_buffer
      - .actual_access:  read_only
        .address_space:  global
        .offset:         24
        .size:           8
        .value_kind:     global_buffer
      - .actual_access:  read_only
        .address_space:  global
        .offset:         32
        .size:           8
        .value_kind:     global_buffer
      - .offset:         40
        .size:           8
        .value_kind:     by_value
      - .actual_access:  read_only
        .address_space:  global
        .offset:         48
        .size:           8
        .value_kind:     global_buffer
      - .actual_access:  read_only
        .address_space:  global
        .offset:         56
        .size:           8
        .value_kind:     global_buffer
      - .offset:         64
        .size:           4
        .value_kind:     by_value
      - .actual_access:  read_only
        .address_space:  global
        .offset:         72
        .size:           8
        .value_kind:     global_buffer
      - .actual_access:  read_only
        .address_space:  global
        .offset:         80
        .size:           8
        .value_kind:     global_buffer
      - .actual_access:  read_only
        .address_space:  global
        .offset:         88
        .size:           8
        .value_kind:     global_buffer
      - .actual_access:  write_only
        .address_space:  global
        .offset:         96
        .size:           8
        .value_kind:     global_buffer
    .group_segment_fixed_size: 0
    .kernarg_segment_align: 8
    .kernarg_segment_size: 104
    .language:       OpenCL C
    .language_version:
      - 2
      - 0
    .max_flat_workgroup_size: 204
    .name:           fft_rtc_back_len1020_factors_2_17_2_3_5_wgs_204_tpt_68_halfLds_half_op_CI_CI_sbrr_dirReg
    .private_segment_fixed_size: 0
    .sgpr_count:     36
    .sgpr_spill_count: 0
    .symbol:         fft_rtc_back_len1020_factors_2_17_2_3_5_wgs_204_tpt_68_halfLds_half_op_CI_CI_sbrr_dirReg.kd
    .uniform_work_group_size: 1
    .uses_dynamic_stack: false
    .vgpr_count:     105
    .vgpr_spill_count: 0
    .wavefront_size: 64
amdhsa.target:   amdgcn-amd-amdhsa--gfx906
amdhsa.version:
  - 1
  - 2
...

	.end_amdgpu_metadata
